;; amdgpu-corpus repo=ROCm/rocFFT kind=compiled arch=gfx1201 opt=O3
	.text
	.amdgcn_target "amdgcn-amd-amdhsa--gfx1201"
	.amdhsa_code_object_version 6
	.protected	fft_rtc_back_len884_factors_13_4_17_wgs_204_tpt_68_halfLds_dp_ip_CI_unitstride_sbrr_C2R_dirReg ; -- Begin function fft_rtc_back_len884_factors_13_4_17_wgs_204_tpt_68_halfLds_dp_ip_CI_unitstride_sbrr_C2R_dirReg
	.globl	fft_rtc_back_len884_factors_13_4_17_wgs_204_tpt_68_halfLds_dp_ip_CI_unitstride_sbrr_C2R_dirReg
	.p2align	8
	.type	fft_rtc_back_len884_factors_13_4_17_wgs_204_tpt_68_halfLds_dp_ip_CI_unitstride_sbrr_C2R_dirReg,@function
fft_rtc_back_len884_factors_13_4_17_wgs_204_tpt_68_halfLds_dp_ip_CI_unitstride_sbrr_C2R_dirReg: ; @fft_rtc_back_len884_factors_13_4_17_wgs_204_tpt_68_halfLds_dp_ip_CI_unitstride_sbrr_C2R_dirReg
; %bb.0:
	s_load_b128 s[4:7], s[0:1], 0x0
	v_mul_u32_u24_e32 v1, 0x3c4, v0
	s_clause 0x1
	s_load_b64 s[8:9], s[0:1], 0x50
	s_load_b64 s[10:11], s[0:1], 0x18
	v_mov_b32_e32 v5, 0
	v_lshrrev_b32_e32 v1, 16, v1
	s_delay_alu instid0(VALU_DEP_1) | instskip(SKIP_3) | instid1(VALU_DEP_1)
	v_mad_co_u64_u32 v[1:2], null, ttmp9, 3, v[1:2]
	v_mov_b32_e32 v3, 0
	v_mov_b32_e32 v4, 0
	;; [unrolled: 1-line block ×4, first 2 shown]
	s_wait_kmcnt 0x0
	v_cmp_lt_u64_e64 s2, s[6:7], 2
	v_mov_b32_e32 v9, v1
	s_delay_alu instid0(VALU_DEP_2)
	s_and_b32 vcc_lo, exec_lo, s2
	s_cbranch_vccnz .LBB0_8
; %bb.1:
	s_load_b64 s[2:3], s[0:1], 0x10
	v_dual_mov_b32 v3, 0 :: v_dual_mov_b32 v8, v2
	v_dual_mov_b32 v4, 0 :: v_dual_mov_b32 v7, v1
	s_add_nc_u64 s[12:13], s[10:11], 8
	s_mov_b64 s[14:15], 1
	s_wait_kmcnt 0x0
	s_add_nc_u64 s[16:17], s[2:3], 8
	s_mov_b32 s3, 0
.LBB0_2:                                ; =>This Inner Loop Header: Depth=1
	s_load_b64 s[18:19], s[16:17], 0x0
                                        ; implicit-def: $vgpr9_vgpr10
	s_mov_b32 s2, exec_lo
	s_wait_kmcnt 0x0
	v_or_b32_e32 v6, s19, v8
	s_delay_alu instid0(VALU_DEP_1)
	v_cmpx_ne_u64_e32 0, v[5:6]
	s_wait_alu 0xfffe
	s_xor_b32 s20, exec_lo, s2
	s_cbranch_execz .LBB0_4
; %bb.3:                                ;   in Loop: Header=BB0_2 Depth=1
	s_cvt_f32_u32 s2, s18
	s_cvt_f32_u32 s21, s19
	s_sub_nc_u64 s[24:25], 0, s[18:19]
	s_wait_alu 0xfffe
	s_delay_alu instid0(SALU_CYCLE_1) | instskip(SKIP_1) | instid1(SALU_CYCLE_2)
	s_fmamk_f32 s2, s21, 0x4f800000, s2
	s_wait_alu 0xfffe
	v_s_rcp_f32 s2, s2
	s_delay_alu instid0(TRANS32_DEP_1) | instskip(SKIP_1) | instid1(SALU_CYCLE_2)
	s_mul_f32 s2, s2, 0x5f7ffffc
	s_wait_alu 0xfffe
	s_mul_f32 s21, s2, 0x2f800000
	s_wait_alu 0xfffe
	s_delay_alu instid0(SALU_CYCLE_2) | instskip(SKIP_1) | instid1(SALU_CYCLE_2)
	s_trunc_f32 s21, s21
	s_wait_alu 0xfffe
	s_fmamk_f32 s2, s21, 0xcf800000, s2
	s_cvt_u32_f32 s23, s21
	s_wait_alu 0xfffe
	s_delay_alu instid0(SALU_CYCLE_1) | instskip(SKIP_1) | instid1(SALU_CYCLE_2)
	s_cvt_u32_f32 s22, s2
	s_wait_alu 0xfffe
	s_mul_u64 s[26:27], s[24:25], s[22:23]
	s_wait_alu 0xfffe
	s_mul_hi_u32 s29, s22, s27
	s_mul_i32 s28, s22, s27
	s_mul_hi_u32 s2, s22, s26
	s_mul_i32 s30, s23, s26
	s_wait_alu 0xfffe
	s_add_nc_u64 s[28:29], s[2:3], s[28:29]
	s_mul_hi_u32 s21, s23, s26
	s_mul_hi_u32 s31, s23, s27
	s_add_co_u32 s2, s28, s30
	s_wait_alu 0xfffe
	s_add_co_ci_u32 s2, s29, s21
	s_mul_i32 s26, s23, s27
	s_add_co_ci_u32 s27, s31, 0
	s_wait_alu 0xfffe
	s_add_nc_u64 s[26:27], s[2:3], s[26:27]
	s_wait_alu 0xfffe
	v_add_co_u32 v2, s2, s22, s26
	s_delay_alu instid0(VALU_DEP_1) | instskip(SKIP_1) | instid1(VALU_DEP_1)
	s_cmp_lg_u32 s2, 0
	s_add_co_ci_u32 s23, s23, s27
	v_readfirstlane_b32 s22, v2
	s_wait_alu 0xfffe
	s_delay_alu instid0(VALU_DEP_1)
	s_mul_u64 s[24:25], s[24:25], s[22:23]
	s_wait_alu 0xfffe
	s_mul_hi_u32 s27, s22, s25
	s_mul_i32 s26, s22, s25
	s_mul_hi_u32 s2, s22, s24
	s_mul_i32 s28, s23, s24
	s_wait_alu 0xfffe
	s_add_nc_u64 s[26:27], s[2:3], s[26:27]
	s_mul_hi_u32 s21, s23, s24
	s_mul_hi_u32 s22, s23, s25
	s_wait_alu 0xfffe
	s_add_co_u32 s2, s26, s28
	s_add_co_ci_u32 s2, s27, s21
	s_mul_i32 s24, s23, s25
	s_add_co_ci_u32 s25, s22, 0
	s_wait_alu 0xfffe
	s_add_nc_u64 s[24:25], s[2:3], s[24:25]
	s_wait_alu 0xfffe
	v_add_co_u32 v2, s2, v2, s24
	s_delay_alu instid0(VALU_DEP_1) | instskip(SKIP_1) | instid1(VALU_DEP_1)
	s_cmp_lg_u32 s2, 0
	s_add_co_ci_u32 s2, s23, s25
	v_mul_hi_u32 v6, v7, v2
	s_wait_alu 0xfffe
	v_mad_co_u64_u32 v[9:10], null, v7, s2, 0
	v_mad_co_u64_u32 v[11:12], null, v8, v2, 0
	;; [unrolled: 1-line block ×3, first 2 shown]
	s_delay_alu instid0(VALU_DEP_3) | instskip(SKIP_1) | instid1(VALU_DEP_4)
	v_add_co_u32 v2, vcc_lo, v6, v9
	s_wait_alu 0xfffd
	v_add_co_ci_u32_e32 v6, vcc_lo, 0, v10, vcc_lo
	s_delay_alu instid0(VALU_DEP_2) | instskip(SKIP_1) | instid1(VALU_DEP_2)
	v_add_co_u32 v2, vcc_lo, v2, v11
	s_wait_alu 0xfffd
	v_add_co_ci_u32_e32 v2, vcc_lo, v6, v12, vcc_lo
	s_wait_alu 0xfffd
	v_add_co_ci_u32_e32 v6, vcc_lo, 0, v14, vcc_lo
	s_delay_alu instid0(VALU_DEP_2) | instskip(SKIP_1) | instid1(VALU_DEP_2)
	v_add_co_u32 v2, vcc_lo, v2, v13
	s_wait_alu 0xfffd
	v_add_co_ci_u32_e32 v6, vcc_lo, 0, v6, vcc_lo
	s_delay_alu instid0(VALU_DEP_2) | instskip(SKIP_1) | instid1(VALU_DEP_3)
	v_mul_lo_u32 v11, s19, v2
	v_mad_co_u64_u32 v[9:10], null, s18, v2, 0
	v_mul_lo_u32 v12, s18, v6
	s_delay_alu instid0(VALU_DEP_2) | instskip(NEXT) | instid1(VALU_DEP_2)
	v_sub_co_u32 v9, vcc_lo, v7, v9
	v_add3_u32 v10, v10, v12, v11
	s_delay_alu instid0(VALU_DEP_1) | instskip(SKIP_1) | instid1(VALU_DEP_1)
	v_sub_nc_u32_e32 v11, v8, v10
	s_wait_alu 0xfffd
	v_subrev_co_ci_u32_e64 v11, s2, s19, v11, vcc_lo
	v_add_co_u32 v12, s2, v2, 2
	s_wait_alu 0xf1ff
	v_add_co_ci_u32_e64 v13, s2, 0, v6, s2
	v_sub_co_u32 v14, s2, v9, s18
	v_sub_co_ci_u32_e32 v10, vcc_lo, v8, v10, vcc_lo
	s_wait_alu 0xf1ff
	v_subrev_co_ci_u32_e64 v11, s2, 0, v11, s2
	s_delay_alu instid0(VALU_DEP_3) | instskip(NEXT) | instid1(VALU_DEP_3)
	v_cmp_le_u32_e32 vcc_lo, s18, v14
	v_cmp_eq_u32_e64 s2, s19, v10
	s_wait_alu 0xfffd
	v_cndmask_b32_e64 v14, 0, -1, vcc_lo
	v_cmp_le_u32_e32 vcc_lo, s19, v11
	s_wait_alu 0xfffd
	v_cndmask_b32_e64 v15, 0, -1, vcc_lo
	v_cmp_le_u32_e32 vcc_lo, s18, v9
	;; [unrolled: 3-line block ×3, first 2 shown]
	s_wait_alu 0xfffd
	v_cndmask_b32_e64 v16, 0, -1, vcc_lo
	v_cmp_eq_u32_e32 vcc_lo, s19, v11
	s_wait_alu 0xf1ff
	s_delay_alu instid0(VALU_DEP_2)
	v_cndmask_b32_e64 v9, v16, v9, s2
	s_wait_alu 0xfffd
	v_cndmask_b32_e32 v11, v15, v14, vcc_lo
	v_add_co_u32 v14, vcc_lo, v2, 1
	s_wait_alu 0xfffd
	v_add_co_ci_u32_e32 v15, vcc_lo, 0, v6, vcc_lo
	s_delay_alu instid0(VALU_DEP_3) | instskip(SKIP_1) | instid1(VALU_DEP_2)
	v_cmp_ne_u32_e32 vcc_lo, 0, v11
	s_wait_alu 0xfffd
	v_dual_cndmask_b32 v10, v15, v13 :: v_dual_cndmask_b32 v11, v14, v12
	v_cmp_ne_u32_e32 vcc_lo, 0, v9
	s_wait_alu 0xfffd
	s_delay_alu instid0(VALU_DEP_2) | instskip(NEXT) | instid1(VALU_DEP_3)
	v_cndmask_b32_e32 v10, v6, v10, vcc_lo
	v_cndmask_b32_e32 v9, v2, v11, vcc_lo
.LBB0_4:                                ;   in Loop: Header=BB0_2 Depth=1
	s_wait_alu 0xfffe
	s_and_not1_saveexec_b32 s2, s20
	s_cbranch_execz .LBB0_6
; %bb.5:                                ;   in Loop: Header=BB0_2 Depth=1
	v_cvt_f32_u32_e32 v2, s18
	s_sub_co_i32 s20, 0, s18
	s_delay_alu instid0(VALU_DEP_1) | instskip(NEXT) | instid1(TRANS32_DEP_1)
	v_rcp_iflag_f32_e32 v2, v2
	v_mul_f32_e32 v2, 0x4f7ffffe, v2
	s_delay_alu instid0(VALU_DEP_1) | instskip(SKIP_1) | instid1(VALU_DEP_1)
	v_cvt_u32_f32_e32 v2, v2
	s_wait_alu 0xfffe
	v_mul_lo_u32 v6, s20, v2
	s_delay_alu instid0(VALU_DEP_1) | instskip(NEXT) | instid1(VALU_DEP_1)
	v_mul_hi_u32 v6, v2, v6
	v_add_nc_u32_e32 v2, v2, v6
	s_delay_alu instid0(VALU_DEP_1) | instskip(NEXT) | instid1(VALU_DEP_1)
	v_mul_hi_u32 v2, v7, v2
	v_mul_lo_u32 v6, v2, s18
	v_add_nc_u32_e32 v9, 1, v2
	s_delay_alu instid0(VALU_DEP_2) | instskip(NEXT) | instid1(VALU_DEP_1)
	v_sub_nc_u32_e32 v6, v7, v6
	v_subrev_nc_u32_e32 v10, s18, v6
	v_cmp_le_u32_e32 vcc_lo, s18, v6
	s_wait_alu 0xfffd
	s_delay_alu instid0(VALU_DEP_2) | instskip(SKIP_2) | instid1(VALU_DEP_3)
	v_cndmask_b32_e32 v6, v6, v10, vcc_lo
	v_mov_b32_e32 v10, v5
	v_cndmask_b32_e32 v2, v2, v9, vcc_lo
	v_cmp_le_u32_e32 vcc_lo, s18, v6
	s_delay_alu instid0(VALU_DEP_2) | instskip(SKIP_1) | instid1(VALU_DEP_1)
	v_add_nc_u32_e32 v9, 1, v2
	s_wait_alu 0xfffd
	v_cndmask_b32_e32 v9, v2, v9, vcc_lo
.LBB0_6:                                ;   in Loop: Header=BB0_2 Depth=1
	s_wait_alu 0xfffe
	s_or_b32 exec_lo, exec_lo, s2
	s_load_b64 s[20:21], s[12:13], 0x0
	v_mul_lo_u32 v2, v10, s18
	v_mul_lo_u32 v6, v9, s19
	v_mad_co_u64_u32 v[11:12], null, v9, s18, 0
	s_add_nc_u64 s[14:15], s[14:15], 1
	s_add_nc_u64 s[12:13], s[12:13], 8
	s_wait_alu 0xfffe
	v_cmp_ge_u64_e64 s2, s[14:15], s[6:7]
	s_add_nc_u64 s[16:17], s[16:17], 8
	s_delay_alu instid0(VALU_DEP_2) | instskip(NEXT) | instid1(VALU_DEP_3)
	v_add3_u32 v2, v12, v6, v2
	v_sub_co_u32 v6, vcc_lo, v7, v11
	s_wait_alu 0xfffd
	s_delay_alu instid0(VALU_DEP_2) | instskip(SKIP_3) | instid1(VALU_DEP_2)
	v_sub_co_ci_u32_e32 v2, vcc_lo, v8, v2, vcc_lo
	s_and_b32 vcc_lo, exec_lo, s2
	s_wait_kmcnt 0x0
	v_mul_lo_u32 v7, s21, v6
	v_mul_lo_u32 v2, s20, v2
	v_mad_co_u64_u32 v[3:4], null, s20, v6, v[3:4]
	s_delay_alu instid0(VALU_DEP_1)
	v_add3_u32 v4, v7, v4, v2
	s_wait_alu 0xfffe
	s_cbranch_vccnz .LBB0_8
; %bb.7:                                ;   in Loop: Header=BB0_2 Depth=1
	v_dual_mov_b32 v7, v9 :: v_dual_mov_b32 v8, v10
	s_branch .LBB0_2
.LBB0_8:
	s_lshl_b64 s[2:3], s[6:7], 3
	v_mul_hi_u32 v2, 0xaaaaaaab, v1
	s_wait_alu 0xfffe
	s_add_nc_u64 s[2:3], s[10:11], s[2:3]
	s_load_b64 s[0:1], s[0:1], 0x20
	s_load_b64 s[2:3], s[2:3], 0x0
	v_mul_hi_u32 v5, 0x3c3c3c4, v0
	s_delay_alu instid0(VALU_DEP_2) | instskip(NEXT) | instid1(VALU_DEP_2)
	v_lshrrev_b32_e32 v2, 1, v2
	v_mul_u32_u24_e32 v5, 0x44, v5
	s_delay_alu instid0(VALU_DEP_2) | instskip(NEXT) | instid1(VALU_DEP_2)
	v_lshl_add_u32 v2, v2, 1, v2
	v_sub_nc_u32_e32 v68, v0, v5
	s_delay_alu instid0(VALU_DEP_2)
	v_sub_nc_u32_e32 v1, v1, v2
	s_wait_kmcnt 0x0
	v_cmp_gt_u64_e32 vcc_lo, s[0:1], v[9:10]
	v_mul_lo_u32 v6, s2, v10
	v_mul_lo_u32 v7, s3, v9
	v_mad_co_u64_u32 v[3:4], null, s2, v9, v[3:4]
	v_mul_u32_u24_e32 v2, 0x375, v1
	s_delay_alu instid0(VALU_DEP_1) | instskip(NEXT) | instid1(VALU_DEP_3)
	v_lshlrev_b32_e32 v73, 4, v2
	v_add3_u32 v4, v7, v4, v6
	s_delay_alu instid0(VALU_DEP_1)
	v_lshlrev_b64_e32 v[70:71], 4, v[3:4]
	s_and_saveexec_b32 s1, vcc_lo
	s_cbranch_execz .LBB0_12
; %bb.9:
	v_mov_b32_e32 v69, 0
	s_delay_alu instid0(VALU_DEP_2) | instskip(SKIP_2) | instid1(VALU_DEP_3)
	v_add_co_u32 v0, s0, s8, v70
	s_wait_alu 0xf1ff
	v_add_co_ci_u32_e64 v1, s0, s9, v71, s0
	v_lshlrev_b64_e32 v[3:4], 4, v[68:69]
	s_mov_b32 s2, exec_lo
	s_delay_alu instid0(VALU_DEP_1) | instskip(SKIP_1) | instid1(VALU_DEP_2)
	v_add_co_u32 v52, s0, v0, v3
	s_wait_alu 0xf1ff
	v_add_co_ci_u32_e64 v53, s0, v1, v4, s0
	v_lshlrev_b32_e32 v3, 4, v68
	s_clause 0xc
	global_load_b128 v[4:7], v[52:53], off
	global_load_b128 v[8:11], v[52:53], off offset:1088
	global_load_b128 v[12:15], v[52:53], off offset:2176
	;; [unrolled: 1-line block ×12, first 2 shown]
	v_add3_u32 v3, 0, v73, v3
	s_wait_loadcnt 0xc
	ds_store_b128 v3, v[4:7]
	s_wait_loadcnt 0xb
	ds_store_b128 v3, v[8:11] offset:1088
	s_wait_loadcnt 0xa
	ds_store_b128 v3, v[12:15] offset:2176
	s_wait_loadcnt 0x9
	ds_store_b128 v3, v[16:19] offset:3264
	s_wait_loadcnt 0x8
	ds_store_b128 v3, v[20:23] offset:4352
	s_wait_loadcnt 0x7
	ds_store_b128 v3, v[24:27] offset:5440
	s_wait_loadcnt 0x6
	ds_store_b128 v3, v[28:31] offset:6528
	s_wait_loadcnt 0x5
	ds_store_b128 v3, v[32:35] offset:7616
	s_wait_loadcnt 0x4
	ds_store_b128 v3, v[36:39] offset:8704
	s_wait_loadcnt 0x3
	ds_store_b128 v3, v[40:43] offset:9792
	s_wait_loadcnt 0x2
	ds_store_b128 v3, v[44:47] offset:10880
	s_wait_loadcnt 0x1
	ds_store_b128 v3, v[48:51] offset:11968
	s_wait_loadcnt 0x0
	ds_store_b128 v3, v[52:55] offset:13056
	v_cmpx_eq_u32_e32 0x43, v68
	s_cbranch_execz .LBB0_11
; %bb.10:
	global_load_b128 v[4:7], v[0:1], off offset:14144
	v_mov_b32_e32 v68, 0x43
	s_wait_loadcnt 0x0
	ds_store_b128 v3, v[4:7] offset:13072
.LBB0_11:
	s_wait_alu 0xfffe
	s_or_b32 exec_lo, exec_lo, s2
.LBB0_12:
	s_wait_alu 0xfffe
	s_or_b32 exec_lo, exec_lo, s1
	v_lshl_add_u32 v188, v2, 4, 0
	v_lshlrev_b32_e32 v72, 4, v68
	global_wb scope:SCOPE_SE
	s_wait_dscnt 0x0
	s_barrier_signal -1
	s_barrier_wait -1
	global_inv scope:SCOPE_SE
	v_add_nc_u32_e32 v189, v188, v72
	v_sub_nc_u32_e32 v10, v188, v72
	s_mov_b32 s1, exec_lo
                                        ; implicit-def: $vgpr4_vgpr5
	ds_load_b64 v[6:7], v189
	ds_load_b64 v[8:9], v10 offset:14144
	s_wait_dscnt 0x0
	v_add_f64_e32 v[0:1], v[6:7], v[8:9]
	v_add_f64_e64 v[2:3], v[6:7], -v[8:9]
	v_cmpx_ne_u32_e32 0, v68
	s_wait_alu 0xfffe
	s_xor_b32 s1, exec_lo, s1
	s_cbranch_execz .LBB0_14
; %bb.13:
	v_mov_b32_e32 v69, 0
	v_add_f64_e32 v[13:14], v[6:7], v[8:9]
	v_add_f64_e64 v[15:16], v[6:7], -v[8:9]
	s_delay_alu instid0(VALU_DEP_3) | instskip(NEXT) | instid1(VALU_DEP_1)
	v_lshlrev_b64_e32 v[0:1], 4, v[68:69]
	v_add_co_u32 v0, s0, s4, v0
	s_wait_alu 0xf1ff
	s_delay_alu instid0(VALU_DEP_2)
	v_add_co_ci_u32_e64 v1, s0, s5, v1, s0
	global_load_b128 v[2:5], v[0:1], off offset:13936
	ds_load_b64 v[0:1], v10 offset:14152
	ds_load_b64 v[11:12], v189 offset:8
	s_wait_dscnt 0x0
	v_add_f64_e32 v[6:7], v[0:1], v[11:12]
	v_add_f64_e64 v[0:1], v[11:12], -v[0:1]
	s_wait_loadcnt 0x0
	v_fma_f64 v[8:9], v[15:16], v[4:5], v[13:14]
	v_fma_f64 v[11:12], -v[15:16], v[4:5], v[13:14]
	s_delay_alu instid0(VALU_DEP_3) | instskip(SKIP_1) | instid1(VALU_DEP_4)
	v_fma_f64 v[13:14], v[6:7], v[4:5], -v[0:1]
	v_fma_f64 v[4:5], v[6:7], v[4:5], v[0:1]
	v_fma_f64 v[0:1], -v[6:7], v[2:3], v[8:9]
	s_delay_alu instid0(VALU_DEP_4) | instskip(NEXT) | instid1(VALU_DEP_4)
	v_fma_f64 v[6:7], v[6:7], v[2:3], v[11:12]
	v_fma_f64 v[8:9], v[15:16], v[2:3], v[13:14]
	s_delay_alu instid0(VALU_DEP_4)
	v_fma_f64 v[2:3], v[15:16], v[2:3], v[4:5]
	v_dual_mov_b32 v4, v68 :: v_dual_mov_b32 v5, v69
	ds_store_b128 v10, v[6:9] offset:14144
.LBB0_14:
	s_wait_alu 0xfffe
	s_and_not1_saveexec_b32 s0, s1
	s_cbranch_execz .LBB0_16
; %bb.15:
	ds_load_b128 v[4:7], v188 offset:7072
	s_wait_dscnt 0x0
	v_add_f64_e32 v[11:12], v[4:5], v[4:5]
	v_mul_f64_e32 v[13:14], -2.0, v[6:7]
	v_mov_b32_e32 v4, 0
	v_mov_b32_e32 v5, 0
	ds_store_b128 v188, v[11:14] offset:7072
.LBB0_16:
	s_wait_alu 0xfffe
	s_or_b32 exec_lo, exec_lo, s0
	v_lshlrev_b64_e32 v[4:5], 4, v[4:5]
	s_add_nc_u64 s[0:1], s[4:5], 0x3670
	s_wait_alu 0xfffe
	s_delay_alu instid0(VALU_DEP_1) | instskip(SKIP_1) | instid1(VALU_DEP_2)
	v_add_co_u32 v4, s0, s0, v4
	s_wait_alu 0xf1ff
	v_add_co_ci_u32_e64 v5, s0, s1, v5, s0
	s_mov_b32 s1, exec_lo
	s_clause 0x1
	global_load_b128 v[6:9], v[4:5], off offset:1088
	global_load_b128 v[11:14], v[4:5], off offset:2176
	ds_store_b128 v189, v[0:3]
	ds_load_b128 v[0:3], v189 offset:1088
	ds_load_b128 v[15:18], v10 offset:13056
	global_load_b128 v[19:22], v[4:5], off offset:3264
	s_wait_dscnt 0x0
	v_add_f64_e32 v[23:24], v[0:1], v[15:16]
	v_add_f64_e32 v[25:26], v[17:18], v[2:3]
	v_add_f64_e64 v[27:28], v[0:1], -v[15:16]
	v_add_f64_e64 v[0:1], v[2:3], -v[17:18]
	s_wait_loadcnt 0x2
	s_delay_alu instid0(VALU_DEP_2) | instskip(NEXT) | instid1(VALU_DEP_2)
	v_fma_f64 v[2:3], v[27:28], v[8:9], v[23:24]
	v_fma_f64 v[15:16], v[25:26], v[8:9], v[0:1]
	v_fma_f64 v[17:18], -v[27:28], v[8:9], v[23:24]
	v_fma_f64 v[8:9], v[25:26], v[8:9], -v[0:1]
	s_delay_alu instid0(VALU_DEP_4) | instskip(NEXT) | instid1(VALU_DEP_4)
	v_fma_f64 v[0:1], -v[25:26], v[6:7], v[2:3]
	v_fma_f64 v[2:3], v[27:28], v[6:7], v[15:16]
	s_delay_alu instid0(VALU_DEP_4) | instskip(NEXT) | instid1(VALU_DEP_4)
	v_fma_f64 v[15:16], v[25:26], v[6:7], v[17:18]
	v_fma_f64 v[17:18], v[27:28], v[6:7], v[8:9]
	ds_store_b128 v189, v[0:3] offset:1088
	ds_store_b128 v10, v[15:18] offset:13056
	ds_load_b128 v[0:3], v189 offset:2176
	ds_load_b128 v[6:9], v10 offset:11968
	global_load_b128 v[15:18], v[4:5], off offset:4352
	s_wait_dscnt 0x0
	v_add_f64_e32 v[23:24], v[0:1], v[6:7]
	v_add_f64_e32 v[25:26], v[8:9], v[2:3]
	v_add_f64_e64 v[27:28], v[0:1], -v[6:7]
	v_add_f64_e64 v[0:1], v[2:3], -v[8:9]
	s_wait_loadcnt 0x2
	s_delay_alu instid0(VALU_DEP_2) | instskip(NEXT) | instid1(VALU_DEP_2)
	v_fma_f64 v[2:3], v[27:28], v[13:14], v[23:24]
	v_fma_f64 v[6:7], v[25:26], v[13:14], v[0:1]
	v_fma_f64 v[8:9], -v[27:28], v[13:14], v[23:24]
	v_fma_f64 v[13:14], v[25:26], v[13:14], -v[0:1]
	s_delay_alu instid0(VALU_DEP_4) | instskip(NEXT) | instid1(VALU_DEP_4)
	v_fma_f64 v[0:1], -v[25:26], v[11:12], v[2:3]
	v_fma_f64 v[2:3], v[27:28], v[11:12], v[6:7]
	s_delay_alu instid0(VALU_DEP_4) | instskip(NEXT) | instid1(VALU_DEP_4)
	v_fma_f64 v[6:7], v[25:26], v[11:12], v[8:9]
	v_fma_f64 v[8:9], v[27:28], v[11:12], v[13:14]
	ds_store_b128 v189, v[0:3] offset:2176
	ds_store_b128 v10, v[6:9] offset:11968
	ds_load_b128 v[0:3], v189 offset:3264
	ds_load_b128 v[6:9], v10 offset:10880
	global_load_b128 v[11:14], v[4:5], off offset:5440
	s_wait_dscnt 0x0
	v_add_f64_e32 v[23:24], v[0:1], v[6:7]
	v_add_f64_e32 v[25:26], v[8:9], v[2:3]
	v_add_f64_e64 v[27:28], v[0:1], -v[6:7]
	v_add_f64_e64 v[0:1], v[2:3], -v[8:9]
	s_wait_loadcnt 0x2
	s_delay_alu instid0(VALU_DEP_2) | instskip(NEXT) | instid1(VALU_DEP_2)
	v_fma_f64 v[2:3], v[27:28], v[21:22], v[23:24]
	v_fma_f64 v[6:7], v[25:26], v[21:22], v[0:1]
	v_fma_f64 v[8:9], -v[27:28], v[21:22], v[23:24]
	v_fma_f64 v[21:22], v[25:26], v[21:22], -v[0:1]
	s_delay_alu instid0(VALU_DEP_4) | instskip(NEXT) | instid1(VALU_DEP_4)
	v_fma_f64 v[0:1], -v[25:26], v[19:20], v[2:3]
	v_fma_f64 v[2:3], v[27:28], v[19:20], v[6:7]
	s_delay_alu instid0(VALU_DEP_4) | instskip(NEXT) | instid1(VALU_DEP_4)
	v_fma_f64 v[6:7], v[25:26], v[19:20], v[8:9]
	v_fma_f64 v[8:9], v[27:28], v[19:20], v[21:22]
	ds_store_b128 v189, v[0:3] offset:3264
	ds_store_b128 v10, v[6:9] offset:10880
	ds_load_b128 v[0:3], v189 offset:4352
	ds_load_b128 v[6:9], v10 offset:9792
	s_wait_dscnt 0x0
	v_add_f64_e32 v[19:20], v[0:1], v[6:7]
	v_add_f64_e32 v[21:22], v[8:9], v[2:3]
	v_add_f64_e64 v[23:24], v[0:1], -v[6:7]
	v_add_f64_e64 v[0:1], v[2:3], -v[8:9]
	s_wait_loadcnt 0x1
	s_delay_alu instid0(VALU_DEP_2) | instskip(NEXT) | instid1(VALU_DEP_2)
	v_fma_f64 v[2:3], v[23:24], v[17:18], v[19:20]
	v_fma_f64 v[6:7], v[21:22], v[17:18], v[0:1]
	v_fma_f64 v[8:9], -v[23:24], v[17:18], v[19:20]
	v_fma_f64 v[17:18], v[21:22], v[17:18], -v[0:1]
	s_delay_alu instid0(VALU_DEP_4) | instskip(NEXT) | instid1(VALU_DEP_4)
	v_fma_f64 v[0:1], -v[21:22], v[15:16], v[2:3]
	v_fma_f64 v[2:3], v[23:24], v[15:16], v[6:7]
	s_delay_alu instid0(VALU_DEP_4) | instskip(NEXT) | instid1(VALU_DEP_4)
	v_fma_f64 v[6:7], v[21:22], v[15:16], v[8:9]
	v_fma_f64 v[8:9], v[23:24], v[15:16], v[17:18]
	ds_store_b128 v189, v[0:3] offset:4352
	ds_store_b128 v10, v[6:9] offset:9792
	ds_load_b128 v[0:3], v189 offset:5440
	ds_load_b128 v[6:9], v10 offset:8704
	s_wait_dscnt 0x0
	v_add_f64_e32 v[15:16], v[0:1], v[6:7]
	v_add_f64_e32 v[17:18], v[8:9], v[2:3]
	v_add_f64_e64 v[19:20], v[0:1], -v[6:7]
	v_add_f64_e64 v[0:1], v[2:3], -v[8:9]
	s_wait_loadcnt 0x0
	s_delay_alu instid0(VALU_DEP_2) | instskip(NEXT) | instid1(VALU_DEP_2)
	v_fma_f64 v[2:3], v[19:20], v[13:14], v[15:16]
	v_fma_f64 v[6:7], v[17:18], v[13:14], v[0:1]
	v_fma_f64 v[8:9], -v[19:20], v[13:14], v[15:16]
	v_fma_f64 v[13:14], v[17:18], v[13:14], -v[0:1]
	s_delay_alu instid0(VALU_DEP_4) | instskip(NEXT) | instid1(VALU_DEP_4)
	v_fma_f64 v[0:1], -v[17:18], v[11:12], v[2:3]
	v_fma_f64 v[2:3], v[19:20], v[11:12], v[6:7]
	s_delay_alu instid0(VALU_DEP_4) | instskip(NEXT) | instid1(VALU_DEP_4)
	v_fma_f64 v[6:7], v[17:18], v[11:12], v[8:9]
	v_fma_f64 v[8:9], v[19:20], v[11:12], v[13:14]
	ds_store_b128 v189, v[0:3] offset:5440
	ds_store_b128 v10, v[6:9] offset:8704
	v_cmpx_gt_u32_e32 34, v68
	s_cbranch_execz .LBB0_18
; %bb.17:
	global_load_b128 v[0:3], v[4:5], off offset:6528
	ds_load_b128 v[4:7], v189 offset:6528
	ds_load_b128 v[11:14], v10 offset:7616
	s_wait_dscnt 0x0
	v_add_f64_e32 v[8:9], v[4:5], v[11:12]
	v_add_f64_e32 v[15:16], v[13:14], v[6:7]
	v_add_f64_e64 v[11:12], v[4:5], -v[11:12]
	v_add_f64_e64 v[4:5], v[6:7], -v[13:14]
	s_wait_loadcnt 0x0
	s_delay_alu instid0(VALU_DEP_2) | instskip(NEXT) | instid1(VALU_DEP_2)
	v_fma_f64 v[6:7], v[11:12], v[2:3], v[8:9]
	v_fma_f64 v[13:14], v[15:16], v[2:3], v[4:5]
	v_fma_f64 v[8:9], -v[11:12], v[2:3], v[8:9]
	v_fma_f64 v[17:18], v[15:16], v[2:3], -v[4:5]
	s_delay_alu instid0(VALU_DEP_4) | instskip(NEXT) | instid1(VALU_DEP_4)
	v_fma_f64 v[2:3], -v[15:16], v[0:1], v[6:7]
	v_fma_f64 v[4:5], v[11:12], v[0:1], v[13:14]
	s_delay_alu instid0(VALU_DEP_4) | instskip(NEXT) | instid1(VALU_DEP_4)
	v_fma_f64 v[6:7], v[15:16], v[0:1], v[8:9]
	v_fma_f64 v[8:9], v[11:12], v[0:1], v[17:18]
	ds_store_b128 v189, v[2:5] offset:6528
	ds_store_b128 v10, v[6:9] offset:7616
.LBB0_18:
	s_wait_alu 0xfffe
	s_or_b32 exec_lo, exec_lo, s1
	v_add3_u32 v69, 0, v72, v73
	global_wb scope:SCOPE_SE
	s_wait_dscnt 0x0
	s_barrier_signal -1
	s_barrier_wait -1
	global_inv scope:SCOPE_SE
	global_wb scope:SCOPE_SE
	s_barrier_signal -1
	s_barrier_wait -1
	global_inv scope:SCOPE_SE
	ds_load_b128 v[4:7], v189
	ds_load_b128 v[16:19], v69 offset:1088
	ds_load_b128 v[24:27], v69 offset:2176
	;; [unrolled: 1-line block ×3, first 2 shown]
	s_mov_b32 s6, 0x42a4c3d2
	s_mov_b32 s10, 0x1ea71119
	;; [unrolled: 1-line block ×17, first 2 shown]
	s_wait_dscnt 0x2
	v_add_f64_e32 v[0:1], v[4:5], v[16:17]
	v_add_f64_e32 v[2:3], v[6:7], v[18:19]
	s_mov_b32 s22, 0x4bc48dbf
	s_mov_b32 s1, 0x3fec55a7
	;; [unrolled: 1-line block ×8, first 2 shown]
	s_wait_alu 0xfffe
	s_mov_b32 s30, s6
	s_mov_b32 s35, 0x3fefc445
	s_mov_b32 s34, s2
	s_mov_b32 s37, 0x3fedeba7
	s_mov_b32 s41, 0x3fe5384d
	s_mov_b32 s36, s14
	s_mov_b32 s40, s18
	s_mov_b32 s29, 0x3fddbe06
	s_mov_b32 s28, s12
	s_mov_b32 s39, 0x3fcea1e5
	s_mov_b32 s38, s22
	s_wait_dscnt 0x1
	s_delay_alu instid0(VALU_DEP_2) | instskip(NEXT) | instid1(VALU_DEP_2)
	v_add_f64_e32 v[36:37], v[0:1], v[24:25]
	v_add_f64_e32 v[38:39], v[2:3], v[26:27]
	ds_load_b128 v[0:3], v69 offset:13056
	ds_load_b128 v[12:15], v69 offset:10880
	;; [unrolled: 1-line block ×9, first 2 shown]
	global_wb scope:SCOPE_SE
	s_wait_dscnt 0x0
	s_barrier_signal -1
	s_barrier_wait -1
	global_inv scope:SCOPE_SE
	v_add_f64_e64 v[66:67], v[30:31], -v[14:15]
	v_add_f64_e64 v[40:41], v[18:19], -v[2:3]
	v_add_f64_e32 v[60:61], v[18:19], v[2:3]
	v_add_f64_e64 v[62:63], v[26:27], -v[10:11]
	v_add_f64_e32 v[64:65], v[26:27], v[10:11]
	v_add_f64_e32 v[86:87], v[16:17], v[0:1]
	v_add_f64_e64 v[88:89], v[16:17], -v[0:1]
	v_add_f64_e64 v[80:81], v[48:49], -v[44:45]
	v_add_f64_e32 v[82:83], v[48:49], v[44:45]
	v_add_f64_e32 v[90:91], v[24:25], v[8:9]
	v_add_f64_e64 v[92:93], v[24:25], -v[8:9]
	v_add_f64_e32 v[26:27], v[46:47], v[42:43]
	v_add_f64_e64 v[24:25], v[46:47], -v[42:43]
	;; [unrolled: 2-line block ×3, first 2 shown]
	v_add_f64_e32 v[78:79], v[34:35], v[22:23]
	v_add_f64_e32 v[58:59], v[36:37], v[28:29]
	;; [unrolled: 1-line block ×4, first 2 shown]
	v_add_f64_e64 v[96:97], v[28:29], -v[12:13]
	v_add_f64_e32 v[98:99], v[32:33], v[20:21]
	v_add_f64_e64 v[30:31], v[32:33], -v[20:21]
	v_add_f64_e64 v[84:85], v[52:53], -v[56:57]
	v_add_f64_e32 v[36:37], v[52:53], v[56:57]
	v_add_f64_e32 v[18:19], v[50:51], v[54:55]
	v_add_f64_e64 v[16:17], v[50:51], -v[54:55]
	v_mul_f64_e32 v[142:143], s[22:23], v[66:67]
	v_mul_f64_e32 v[102:103], s[6:7], v[40:41]
	;; [unrolled: 1-line block ×16, first 2 shown]
	v_add_f64_e32 v[58:59], v[58:59], v[32:33]
	v_add_f64_e32 v[112:113], v[38:39], v[34:35]
	v_mul_f64_e32 v[154:155], s[22:23], v[62:63]
	v_mul_f64_e32 v[156:157], s[26:27], v[64:65]
	;; [unrolled: 1-line block ×21, first 2 shown]
	v_fma_f64 v[182:183], v[86:87], s[10:11], v[102:103]
	v_fma_f64 v[194:195], v[88:89], s[30:31], v[116:117]
	;; [unrolled: 1-line block ×7, first 2 shown]
	v_fma_f64 v[100:101], v[86:87], s[0:1], -v[100:101]
	v_fma_f64 v[102:103], v[86:87], s[10:11], -v[102:103]
	;; [unrolled: 1-line block ×4, first 2 shown]
	v_fma_f64 v[190:191], v[86:87], s[24:25], v[108:109]
	v_fma_f64 v[108:109], v[86:87], s[24:25], -v[108:109]
	v_fma_f64 v[192:193], v[86:87], s[26:27], v[110:111]
	v_fma_f64 v[86:87], v[86:87], s[26:27], -v[110:111]
	v_add_f64_e32 v[46:47], v[58:59], v[46:47]
	v_add_f64_e32 v[48:49], v[112:113], v[48:49]
	v_mul_f64_e32 v[58:59], s[34:35], v[62:63]
	v_mul_f64_e32 v[62:63], s[28:29], v[62:63]
	v_mul_f64_e32 v[112:113], s[16:17], v[64:65]
	v_fma_f64 v[110:111], v[88:89], s[28:29], v[114:115]
	v_fma_f64 v[114:115], v[88:89], s[12:13], v[114:115]
	;; [unrolled: 1-line block ×4, first 2 shown]
	v_mul_f64_e32 v[64:65], s[0:1], v[64:65]
	v_fma_f64 v[202:203], v[88:89], s[38:39], v[60:61]
	v_fma_f64 v[116:117], v[88:89], s[6:7], v[116:117]
	;; [unrolled: 1-line block ×7, first 2 shown]
	v_mul_f64_e32 v[76:77], s[30:31], v[76:77]
	v_fma_f64 v[88:89], v[90:91], s[10:11], v[124:125]
	v_fma_f64 v[218:219], v[90:91], s[26:27], v[154:155]
	v_fma_f64 v[220:221], v[92:93], s[38:39], v[156:157]
	v_fma_f64 v[228:229], v[90:91], s[24:25], v[164:165]
	v_fma_f64 v[230:231], v[92:93], s[18:19], v[166:167]
	v_add_f64_e32 v[182:183], v[4:5], v[182:183]
	v_add_f64_e32 v[194:195], v[6:7], v[194:195]
	;; [unrolled: 1-line block ×7, first 2 shown]
	v_fma_f64 v[204:205], v[92:93], s[30:31], v[126:127]
	v_fma_f64 v[124:125], v[90:91], s[10:11], -v[124:125]
	v_fma_f64 v[138:139], v[90:91], s[20:21], -v[138:139]
	;; [unrolled: 1-line block ×4, first 2 shown]
	v_add_f64_e32 v[190:191], v[4:5], v[190:191]
	v_add_f64_e32 v[108:109], v[4:5], v[108:109]
	;; [unrolled: 1-line block ×5, first 2 shown]
	v_fma_f64 v[232:233], v[90:91], s[16:17], v[58:59]
	v_fma_f64 v[58:59], v[90:91], s[16:17], -v[58:59]
	v_fma_f64 v[234:235], v[90:91], s[0:1], v[62:63]
	v_fma_f64 v[62:63], v[90:91], s[0:1], -v[62:63]
	v_fma_f64 v[90:91], v[92:93], s[6:7], v[126:127]
	v_fma_f64 v[126:127], v[92:93], s[14:15], v[140:141]
	;; [unrolled: 1-line block ×6, first 2 shown]
	v_add_f64_e32 v[114:115], v[6:7], v[114:115]
	v_add_f64_e32 v[200:201], v[6:7], v[200:201]
	;; [unrolled: 1-line block ×3, first 2 shown]
	v_fma_f64 v[236:237], v[92:93], s[12:13], v[64:65]
	v_add_f64_e32 v[100:101], v[4:5], v[100:101]
	v_add_f64_e32 v[202:203], v[6:7], v[202:203]
	v_fma_f64 v[64:65], v[92:93], s[28:29], v[64:65]
	v_add_f64_e32 v[110:111], v[6:7], v[110:111]
	v_add_f64_e32 v[102:103], v[4:5], v[102:103]
	v_add_f64_e32 v[116:117], v[6:7], v[116:117]
	v_add_f64_e32 v[104:105], v[4:5], v[104:105]
	v_add_f64_e32 v[118:119], v[6:7], v[118:119]
	v_add_f64_e32 v[106:107], v[4:5], v[106:107]
	v_add_f64_e32 v[120:121], v[6:7], v[120:121]
	v_add_f64_e32 v[4:5], v[4:5], v[86:87]
	v_add_f64_e32 v[6:7], v[6:7], v[60:61]
	v_mul_f64_e32 v[148:149], s[24:25], v[78:79]
	v_fma_f64 v[212:213], v[94:95], s[26:27], v[142:143]
	v_fma_f64 v[214:215], v[96:97], s[38:39], v[144:145]
	v_add_f64_e32 v[182:183], v[208:209], v[182:183]
	v_add_f64_e32 v[194:195], v[210:211], v[194:195]
	v_fma_f64 v[50:51], v[94:95], s[16:17], v[128:129]
	v_fma_f64 v[52:53], v[96:97], s[34:35], v[130:131]
	;; [unrolled: 1-line block ×5, first 2 shown]
	v_add_f64_e32 v[46:47], v[46:47], v[54:55]
	v_add_f64_e32 v[48:49], v[48:49], v[56:57]
	v_fma_f64 v[224:225], v[96:97], s[14:15], v[160:161]
	v_fma_f64 v[226:227], v[98:99], s[0:1], v[162:163]
	v_fma_f64 v[92:93], v[94:95], s[0:1], v[168:169]
	v_fma_f64 v[128:129], v[94:95], s[16:17], -v[128:129]
	v_fma_f64 v[142:143], v[94:95], s[26:27], -v[142:143]
	;; [unrolled: 1-line block ×4, first 2 shown]
	v_fma_f64 v[54:55], v[94:95], s[10:11], v[174:175]
	v_fma_f64 v[56:57], v[94:95], s[10:11], -v[174:175]
	v_fma_f64 v[174:175], v[94:95], s[24:25], v[66:67]
	v_fma_f64 v[66:67], v[94:95], s[24:25], -v[66:67]
	v_fma_f64 v[94:95], v[96:97], s[12:13], v[170:171]
	v_fma_f64 v[130:131], v[96:97], s[2:3], v[130:131]
	;; [unrolled: 1-line block ×10, first 2 shown]
	v_fma_f64 v[132:133], v[98:99], s[20:21], -v[132:133]
	v_fma_f64 v[146:147], v[98:99], s[24:25], -v[146:147]
	v_fma_f64 v[162:163], v[98:99], s[0:1], -v[162:163]
	v_fma_f64 v[172:173], v[98:99], s[16:17], -v[172:173]
	v_add_f64_e32 v[88:89], v[88:89], v[180:181]
	v_add_f64_e32 v[184:185], v[218:219], v[184:185]
	;; [unrolled: 1-line block ×3, first 2 shown]
	v_mul_f64_e32 v[218:219], s[16:17], v[78:79]
	v_add_f64_e32 v[186:187], v[228:229], v[186:187]
	v_add_f64_e32 v[198:199], v[230:231], v[198:199]
	;; [unrolled: 1-line block ×3, first 2 shown]
	v_mul_f64_e32 v[114:115], s[26:27], v[78:79]
	v_add_f64_e32 v[190:191], v[232:233], v[190:191]
	v_add_f64_e32 v[166:167], v[166:167], v[200:201]
	;; [unrolled: 1-line block ×5, first 2 shown]
	v_fma_f64 v[46:47], v[98:99], s[26:27], v[178:179]
	v_fma_f64 v[48:49], v[98:99], s[26:27], -v[178:179]
	v_fma_f64 v[178:179], v[98:99], s[10:11], v[76:77]
	v_fma_f64 v[76:77], v[98:99], s[10:11], -v[76:77]
	v_mul_f64_e32 v[98:99], s[0:1], v[78:79]
	v_add_f64_e32 v[112:113], v[112:113], v[122:123]
	v_add_f64_e32 v[192:193], v[234:235], v[192:193]
	v_mul_f64_e32 v[134:135], s[20:21], v[78:79]
	v_add_f64_e32 v[100:101], v[124:125], v[100:101]
	v_mul_f64_e32 v[78:79], s[10:11], v[78:79]
	v_add_f64_e32 v[202:203], v[236:237], v[202:203]
	v_add_f64_e32 v[102:103], v[138:139], v[102:103]
	;; [unrolled: 1-line block ×10, first 2 shown]
	v_mul_f64_e32 v[150:151], s[34:35], v[80:81]
	v_mul_f64_e32 v[152:153], s[16:17], v[82:83]
	v_fma_f64 v[122:123], v[30:31], s[18:19], v[148:149]
	v_add_f64_e32 v[182:183], v[212:213], v[182:183]
	v_add_f64_e32 v[194:195], v[214:215], v[194:195]
	v_mul_f64_e32 v[180:181], s[6:7], v[80:81]
	v_mul_f64_e32 v[204:205], s[10:11], v[82:83]
	v_add_f64_e32 v[50:51], v[50:51], v[88:89]
	v_add_f64_e32 v[184:185], v[222:223], v[184:185]
	;; [unrolled: 1-line block ×3, first 2 shown]
	v_mul_f64_e32 v[220:221], s[38:39], v[80:81]
	v_mul_f64_e32 v[228:229], s[26:27], v[82:83]
	v_fma_f64 v[224:225], v[30:31], s[34:35], v[218:219]
	v_add_f64_e32 v[92:93], v[92:93], v[186:187]
	v_add_f64_e32 v[94:95], v[94:95], v[198:199]
	v_mul_f64_e32 v[136:137], s[18:19], v[80:81]
	v_mul_f64_e32 v[138:139], s[28:29], v[80:81]
	;; [unrolled: 1-line block ×4, first 2 shown]
	v_add_f64_e32 v[20:21], v[42:43], v[20:21]
	v_add_f64_e32 v[22:23], v[44:45], v[22:23]
	v_fma_f64 v[44:45], v[30:31], s[40:41], v[148:149]
	v_fma_f64 v[88:89], v[30:31], s[12:13], v[98:99]
	;; [unrolled: 1-line block ×4, first 2 shown]
	v_add_f64_e32 v[54:55], v[54:55], v[190:191]
	v_add_f64_e32 v[60:61], v[60:61], v[166:167]
	v_add_f64_e32 v[56:57], v[56:57], v[58:59]
	v_add_f64_e32 v[58:59], v[86:87], v[112:113]
	v_add_f64_e32 v[86:87], v[174:175], v[192:193]
	v_mul_f64_e32 v[38:39], s[24:25], v[82:83]
	v_mul_f64_e32 v[82:83], s[20:21], v[82:83]
	v_fma_f64 v[164:165], v[30:31], s[36:37], v[134:135]
	v_fma_f64 v[42:43], v[30:31], s[14:15], v[134:135]
	;; [unrolled: 1-line block ×4, first 2 shown]
	v_add_f64_e32 v[100:101], v[128:129], v[100:101]
	v_add_f64_e32 v[128:129], v[176:177], v[202:203]
	v_fma_f64 v[98:99], v[30:31], s[28:29], v[98:99]
	v_fma_f64 v[30:31], v[30:31], s[30:31], v[78:79]
	v_add_f64_e32 v[102:103], v[142:143], v[102:103]
	v_add_f64_e32 v[116:117], v[144:145], v[116:117]
	;; [unrolled: 1-line block ×10, first 2 shown]
	v_mul_f64_e32 v[40:41], s[28:29], v[84:85]
	v_mul_f64_e32 v[34:35], s[0:1], v[36:37]
	v_fma_f64 v[234:235], v[26:27], s[16:17], v[150:151]
	v_fma_f64 v[236:237], v[24:25], s[2:3], v[152:153]
	v_add_f64_e32 v[118:119], v[216:217], v[182:183]
	v_add_f64_e32 v[122:123], v[122:123], v[194:195]
	v_mul_f64_e32 v[208:209], s[18:19], v[84:85]
	v_mul_f64_e32 v[210:211], s[24:25], v[36:37]
	v_fma_f64 v[110:111], v[26:27], s[10:11], v[180:181]
	v_fma_f64 v[212:213], v[24:25], s[30:31], v[204:205]
	v_add_f64_e32 v[130:131], v[226:227], v[184:185]
	v_add_f64_e32 v[88:89], v[88:89], v[196:197]
	;; [unrolled: 6-line block ×3, first 2 shown]
	v_mul_f64_e32 v[154:155], s[14:15], v[84:85]
	v_mul_f64_e32 v[140:141], s[20:21], v[36:37]
	v_add_f64_e32 v[12:13], v[20:21], v[12:13]
	v_fma_f64 v[20:21], v[26:27], s[0:1], v[138:139]
	v_fma_f64 v[96:97], v[26:27], s[20:21], v[80:81]
	;; [unrolled: 1-line block ×3, first 2 shown]
	v_add_f64_e32 v[46:47], v[46:47], v[54:55]
	v_add_f64_e32 v[54:55], v[148:149], v[60:61]
	;; [unrolled: 1-line block ×5, first 2 shown]
	v_mul_f64_e32 v[32:33], s[22:23], v[84:85]
	v_mul_f64_e32 v[28:29], s[26:27], v[36:37]
	;; [unrolled: 1-line block ×4, first 2 shown]
	v_fma_f64 v[60:61], v[24:25], s[36:37], v[82:83]
	v_add_f64_e32 v[86:87], v[218:219], v[128:129]
	v_fma_f64 v[156:157], v[26:27], s[24:25], v[136:137]
	v_fma_f64 v[232:233], v[24:25], s[40:41], v[38:39]
	v_fma_f64 v[78:79], v[26:27], s[24:25], -v[136:137]
	v_fma_f64 v[136:137], v[26:27], s[16:17], -v[150:151]
	;; [unrolled: 1-line block ×4, first 2 shown]
	v_add_f64_e32 v[14:15], v[22:23], v[14:15]
	v_fma_f64 v[22:23], v[26:27], s[0:1], -v[138:139]
	v_fma_f64 v[26:27], v[26:27], s[20:21], -v[80:81]
	v_fma_f64 v[38:39], v[24:25], s[18:19], v[38:39]
	v_fma_f64 v[80:81], v[24:25], s[34:35], v[152:153]
	;; [unrolled: 1-line block ×5, first 2 shown]
	v_add_f64_e32 v[100:101], v[132:133], v[100:101]
	v_add_f64_e32 v[102:103], v[146:147], v[102:103]
	;; [unrolled: 1-line block ×6, first 2 shown]
	v_fma_f64 v[24:25], v[24:25], s[14:15], v[82:83]
	v_add_f64_e32 v[6:7], v[30:31], v[6:7]
	v_add_f64_e32 v[116:117], v[134:135], v[120:121]
	;; [unrolled: 1-line block ×6, first 2 shown]
	v_fma_f64 v[62:63], v[18:19], s[0:1], v[40:41]
	v_fma_f64 v[64:65], v[16:17], s[12:13], v[34:35]
	v_add_f64_e32 v[74:75], v[234:235], v[118:119]
	v_add_f64_e32 v[76:77], v[236:237], v[122:123]
	v_fma_f64 v[214:215], v[18:19], s[24:25], v[208:209]
	v_fma_f64 v[222:223], v[16:17], s[40:41], v[210:211]
	v_add_f64_e32 v[82:83], v[110:111], v[130:131]
	v_add_f64_e32 v[88:89], v[212:213], v[88:89]
	;; [unrolled: 1-line block ×4, first 2 shown]
	v_fma_f64 v[94:95], v[18:19], s[10:11], v[230:231]
	v_fma_f64 v[98:99], v[16:17], s[6:7], v[124:125]
	;; [unrolled: 1-line block ×3, first 2 shown]
	v_add_f64_e32 v[46:47], v[20:21], v[46:47]
	v_add_f64_e32 v[54:55], v[144:145], v[54:55]
	;; [unrolled: 1-line block ×3, first 2 shown]
	v_fma_f64 v[96:97], v[16:17], s[36:37], v[140:141]
	v_fma_f64 v[122:123], v[18:19], s[16:17], v[84:85]
	v_add_f64_e32 v[60:61], v[60:61], v[86:87]
	v_fma_f64 v[86:87], v[16:17], s[2:3], v[36:37]
	v_fma_f64 v[110:111], v[18:19], s[0:1], -v[40:41]
	v_fma_f64 v[40:41], v[18:19], s[10:11], -v[230:231]
	;; [unrolled: 1-line block ×3, first 2 shown]
	v_fma_f64 v[200:201], v[18:19], s[26:27], v[32:33]
	v_add_f64_e32 v[8:9], v[12:13], v[8:9]
	v_add_f64_e32 v[78:79], v[78:79], v[100:101]
	;; [unrolled: 1-line block ×7, first 2 shown]
	v_fma_f64 v[106:107], v[16:17], s[34:35], v[36:37]
	v_add_f64_e32 v[104:105], v[24:25], v[6:7]
	v_fma_f64 v[32:33], v[18:19], s[26:27], -v[32:33]
	v_fma_f64 v[120:121], v[18:19], s[20:21], -v[154:155]
	v_add_f64_e32 v[48:49], v[22:23], v[48:49]
	v_add_f64_e32 v[56:57], v[126:127], v[56:57]
	v_fma_f64 v[112:113], v[16:17], s[14:15], v[140:141]
	v_add_f64_e32 v[66:67], v[142:143], v[116:117]
	v_fma_f64 v[116:117], v[16:17], s[30:31], v[124:125]
	;; [unrolled: 2-line block ×3, first 2 shown]
	v_add_f64_e32 v[50:51], v[156:157], v[50:51]
	v_add_f64_e32 v[52:53], v[232:233], v[52:53]
	v_fma_f64 v[114:115], v[18:19], s[24:25], -v[208:209]
	v_add_f64_e32 v[124:125], v[138:139], v[42:43]
	v_fma_f64 v[126:127], v[16:17], s[18:19], v[210:211]
	v_fma_f64 v[128:129], v[16:17], s[28:29], v[34:35]
	;; [unrolled: 1-line block ×3, first 2 shown]
	v_add_f64_e32 v[132:133], v[38:39], v[30:31]
	v_add_f64_e32 v[12:13], v[62:63], v[74:75]
	;; [unrolled: 1-line block ×11, first 2 shown]
	v_cmp_gt_u32_e64 s0, 17, v68
                                        ; implicit-def: $vgpr54_vgpr55
                                        ; implicit-def: $vgpr58_vgpr59
                                        ; implicit-def: $vgpr62_vgpr63
	v_add_f64_e32 v[8:9], v[8:9], v[0:1]
	v_add_f64_e32 v[24:25], v[40:41], v[44:45]
	;; [unrolled: 1-line block ×13, first 2 shown]
	v_mul_u32_u24_e32 v52, 0xd0, v68
	v_add_f64_e32 v[50:51], v[126:127], v[124:125]
	v_add_f64_e32 v[46:47], v[128:129], v[80:81]
	;; [unrolled: 1-line block ×3, first 2 shown]
	s_delay_alu instid0(VALU_DEP_4)
	v_add3_u32 v52, 0, v52, v73
	ds_store_b128 v52, v[12:15] offset:32
	ds_store_b128 v52, v[16:19] offset:48
	;; [unrolled: 1-line block ×8, first 2 shown]
	ds_store_b128 v52, v[8:11]
	ds_store_b128 v52, v[4:7] offset:16
	ds_store_b128 v52, v[48:51] offset:160
	;; [unrolled: 1-line block ×4, first 2 shown]
	global_wb scope:SCOPE_SE
	s_wait_dscnt 0x0
	s_barrier_signal -1
	s_barrier_wait -1
	global_inv scope:SCOPE_SE
	ds_load_b128 v[4:7], v189
	ds_load_b128 v[8:11], v69 offset:1088
	ds_load_b128 v[32:35], v69 offset:7072
	;; [unrolled: 1-line block ×11, first 2 shown]
	s_and_saveexec_b32 s1, s0
	s_cbranch_execz .LBB0_20
; %bb.19:
	ds_load_b128 v[0:3], v69 offset:3264
	ds_load_b128 v[52:55], v69 offset:6800
	;; [unrolled: 1-line block ×4, first 2 shown]
.LBB0_20:
	s_wait_alu 0xfffe
	s_or_b32 exec_lo, exec_lo, s1
	v_and_b32_e32 v64, 0xff, v68
	v_add_nc_u16 v65, v68, 0x44
	v_add_nc_u16 v67, v68, 0x88
	v_add_nc_u32_e32 v74, 0xcc, v68
	s_delay_alu instid0(VALU_DEP_4) | instskip(NEXT) | instid1(VALU_DEP_4)
	v_mul_lo_u16 v64, 0x4f, v64
	v_and_b32_e32 v66, 0xff, v65
	s_delay_alu instid0(VALU_DEP_3) | instskip(NEXT) | instid1(VALU_DEP_3)
	v_and_b32_e32 v75, 0xffff, v74
	v_lshrrev_b16 v144, 10, v64
	s_delay_alu instid0(VALU_DEP_3) | instskip(SKIP_1) | instid1(VALU_DEP_3)
	v_mul_lo_u16 v64, 0x4f, v66
	v_and_b32_e32 v66, 0xff, v67
	v_mul_lo_u16 v76, v144, 13
	s_delay_alu instid0(VALU_DEP_3) | instskip(NEXT) | instid1(VALU_DEP_3)
	v_lshrrev_b16 v145, 10, v64
	v_mul_lo_u16 v64, 0x4f, v66
	v_mul_u32_u24_e32 v66, 0x4ec5, v75
	s_delay_alu instid0(VALU_DEP_4) | instskip(NEXT) | instid1(VALU_DEP_4)
	v_sub_nc_u16 v75, v68, v76
	v_mul_lo_u16 v76, v145, 13
	s_delay_alu instid0(VALU_DEP_4) | instskip(NEXT) | instid1(VALU_DEP_4)
	v_lshrrev_b16 v146, 10, v64
	v_lshrrev_b32_e32 v64, 18, v66
	s_delay_alu instid0(VALU_DEP_4) | instskip(NEXT) | instid1(VALU_DEP_4)
	v_and_b32_e32 v147, 0xff, v75
	v_sub_nc_u16 v65, v65, v76
	s_delay_alu instid0(VALU_DEP_4) | instskip(NEXT) | instid1(VALU_DEP_4)
	v_mul_lo_u16 v66, v146, 13
	v_mul_lo_u16 v64, v64, 13
	s_delay_alu instid0(VALU_DEP_4) | instskip(NEXT) | instid1(VALU_DEP_4)
	v_mul_u32_u24_e32 v75, 3, v147
	v_and_b32_e32 v148, 0xff, v65
	s_delay_alu instid0(VALU_DEP_4) | instskip(NEXT) | instid1(VALU_DEP_4)
	v_sub_nc_u16 v65, v67, v66
	v_sub_nc_u16 v64, v74, v64
	s_delay_alu instid0(VALU_DEP_4) | instskip(NEXT) | instid1(VALU_DEP_4)
	v_lshlrev_b32_e32 v80, 4, v75
	v_mul_u32_u24_e32 v81, 3, v148
	s_delay_alu instid0(VALU_DEP_4) | instskip(NEXT) | instid1(VALU_DEP_4)
	v_and_b32_e32 v149, 0xff, v65
	v_and_b32_e32 v75, 0xffff, v64
	s_clause 0x1
	global_load_b128 v[64:67], v80, s[4:5] offset:16
	global_load_b128 v[76:79], v80, s[4:5]
	v_lshlrev_b32_e32 v92, 4, v81
	v_mul_u32_u24_e32 v88, 3, v149
	v_mul_u32_u24_e32 v100, 3, v75
	s_clause 0x1
	global_load_b128 v[80:83], v80, s[4:5] offset:32
	global_load_b128 v[84:87], v92, s[4:5]
	v_lshlrev_b32_e32 v104, 4, v88
	v_lshlrev_b32_e32 v116, 4, v100
	s_clause 0x7
	global_load_b128 v[88:91], v92, s[4:5] offset:16
	global_load_b128 v[92:95], v92, s[4:5] offset:32
	global_load_b128 v[96:99], v104, s[4:5]
	global_load_b128 v[100:103], v104, s[4:5] offset:16
	global_load_b128 v[104:107], v104, s[4:5] offset:32
	global_load_b128 v[108:111], v116, s[4:5]
	global_load_b128 v[112:115], v116, s[4:5] offset:16
	global_load_b128 v[116:119], v116, s[4:5] offset:32
	global_wb scope:SCOPE_SE
	s_wait_loadcnt_dscnt 0x0
	s_barrier_signal -1
	s_barrier_wait -1
	global_inv scope:SCOPE_SE
	v_mul_f64_e32 v[122:123], v[34:35], v[66:67]
	v_mul_f64_e32 v[120:121], v[46:47], v[78:79]
	;; [unrolled: 1-line block ×24, first 2 shown]
	v_fma_f64 v[32:33], v[32:33], v[64:65], v[122:123]
	v_fma_f64 v[44:45], v[44:45], v[76:77], v[120:121]
	v_fma_f64 v[46:47], v[46:47], v[76:77], -v[78:79]
	v_fma_f64 v[34:35], v[34:35], v[64:65], -v[66:67]
	v_fma_f64 v[48:49], v[48:49], v[80:81], v[124:125]
	v_fma_f64 v[50:51], v[50:51], v[80:81], -v[82:83]
	v_fma_f64 v[36:37], v[36:37], v[84:85], v[126:127]
	;; [unrolled: 2-line block ×10, first 2 shown]
	v_fma_f64 v[62:63], v[62:63], v[116:117], -v[118:119]
	v_add_f64_e64 v[64:65], v[4:5], -v[32:33]
	v_add_f64_e64 v[66:67], v[6:7], -v[34:35]
	;; [unrolled: 1-line block ×16, first 2 shown]
	v_fma_f64 v[84:85], v[4:5], 2.0, -v[64:65]
	v_fma_f64 v[86:87], v[6:7], 2.0, -v[66:67]
	v_fma_f64 v[4:5], v[44:45], 2.0, -v[32:33]
	v_fma_f64 v[6:7], v[46:47], 2.0, -v[34:35]
	v_fma_f64 v[44:45], v[8:9], 2.0, -v[48:49]
	v_fma_f64 v[46:47], v[10:11], 2.0, -v[50:51]
	v_fma_f64 v[28:29], v[36:37], 2.0, -v[16:17]
	v_fma_f64 v[30:31], v[38:39], 2.0, -v[18:19]
	v_fma_f64 v[36:37], v[12:13], 2.0, -v[76:77]
	v_fma_f64 v[38:39], v[14:15], 2.0, -v[78:79]
	v_fma_f64 v[20:21], v[20:21], 2.0, -v[24:25]
	v_fma_f64 v[22:23], v[22:23], 2.0, -v[26:27]
	v_add_f64_e32 v[12:13], v[64:65], v[34:35]
	v_add_f64_e64 v[14:15], v[66:67], -v[32:33]
	v_fma_f64 v[88:89], v[0:1], 2.0, -v[80:81]
	v_fma_f64 v[90:91], v[2:3], 2.0, -v[82:83]
	;; [unrolled: 1-line block ×4, first 2 shown]
	v_add_f64_e32 v[52:53], v[48:49], v[18:19]
	v_add_f64_e64 v[54:55], v[50:51], -v[16:17]
	v_add_f64_e32 v[40:41], v[76:77], v[26:27]
	v_add_f64_e64 v[42:43], v[78:79], -v[24:25]
	;; [unrolled: 2-line block ×3, first 2 shown]
	v_add_f64_e64 v[8:9], v[84:85], -v[4:5]
	v_add_f64_e64 v[10:11], v[86:87], -v[6:7]
	;; [unrolled: 1-line block ×6, first 2 shown]
	v_fma_f64 v[4:5], v[64:65], 2.0, -v[12:13]
	v_fma_f64 v[6:7], v[66:67], 2.0, -v[14:15]
	v_add_f64_e64 v[32:33], v[88:89], -v[0:1]
	v_add_f64_e64 v[34:35], v[90:91], -v[2:3]
	v_fma_f64 v[24:25], v[48:49], 2.0, -v[52:53]
	v_fma_f64 v[26:27], v[50:51], 2.0, -v[54:55]
	;; [unrolled: 1-line block ×4, first 2 shown]
	v_lshlrev_b32_e32 v76, 4, v148
	v_lshlrev_b32_e32 v77, 4, v149
	v_fma_f64 v[0:1], v[84:85], 2.0, -v[8:9]
	v_fma_f64 v[2:3], v[86:87], 2.0, -v[10:11]
	;; [unrolled: 1-line block ×4, first 2 shown]
	v_and_b32_e32 v44, 0xffff, v144
	v_and_b32_e32 v45, 0xffff, v145
	;; [unrolled: 1-line block ×3, first 2 shown]
	v_lshlrev_b32_e32 v47, 4, v147
	v_fma_f64 v[64:65], v[36:37], 2.0, -v[56:57]
	v_fma_f64 v[66:67], v[38:39], 2.0, -v[58:59]
	;; [unrolled: 1-line block ×4, first 2 shown]
	v_mad_u32_u24 v44, 0x340, v44, 0
	v_mad_u32_u24 v45, 0x340, v45, 0
	v_fma_f64 v[48:49], v[88:89], 2.0, -v[32:33]
	v_fma_f64 v[50:51], v[90:91], 2.0, -v[34:35]
	v_mad_u32_u24 v46, 0x340, v46, 0
	v_add3_u32 v44, v44, v47, v73
	v_add3_u32 v45, v45, v76, v73
	s_delay_alu instid0(VALU_DEP_3)
	v_add3_u32 v46, v46, v77, v73
	ds_store_b128 v44, v[8:11] offset:416
	ds_store_b128 v44, v[12:15] offset:624
	ds_store_b128 v44, v[0:3]
	ds_store_b128 v44, v[4:7] offset:208
	ds_store_b128 v45, v[28:31] offset:416
	;; [unrolled: 1-line block ×3, first 2 shown]
	ds_store_b128 v45, v[20:23]
	ds_store_b128 v45, v[24:27] offset:208
	ds_store_b128 v46, v[64:67]
	ds_store_b128 v46, v[60:63] offset:208
	ds_store_b128 v46, v[56:59] offset:416
	;; [unrolled: 1-line block ×3, first 2 shown]
	s_and_saveexec_b32 s1, s0
	s_cbranch_execz .LBB0_22
; %bb.21:
	v_and_b32_e32 v44, 0xff, v74
	v_lshlrev_b32_e32 v45, 4, v75
	s_delay_alu instid0(VALU_DEP_2) | instskip(NEXT) | instid1(VALU_DEP_1)
	v_mul_lo_u16 v44, 0x4f, v44
	v_lshrrev_b16 v44, 10, v44
	s_delay_alu instid0(VALU_DEP_1) | instskip(NEXT) | instid1(VALU_DEP_1)
	v_and_b32_e32 v44, 0xffff, v44
	v_mad_u32_u24 v44, 0x340, v44, 0
	s_delay_alu instid0(VALU_DEP_1)
	v_add3_u32 v44, v44, v45, v73
	ds_store_b128 v44, v[48:51]
	ds_store_b128 v44, v[36:39] offset:208
	ds_store_b128 v44, v[32:35] offset:416
	;; [unrolled: 1-line block ×3, first 2 shown]
.LBB0_22:
	s_wait_alu 0xfffe
	s_or_b32 exec_lo, exec_lo, s1
	v_cmp_gt_u32_e64 s0, 52, v68
	global_wb scope:SCOPE_SE
	s_wait_dscnt 0x0
	s_barrier_signal -1
	s_barrier_wait -1
	global_inv scope:SCOPE_SE
                                        ; implicit-def: $vgpr46_vgpr47
	s_and_saveexec_b32 s1, s0
	s_cbranch_execz .LBB0_24
; %bb.23:
	ds_load_b128 v[0:3], v189
	ds_load_b128 v[4:7], v69 offset:832
	ds_load_b128 v[8:11], v69 offset:1664
	;; [unrolled: 1-line block ×16, first 2 shown]
.LBB0_24:
	s_wait_alu 0xfffe
	s_or_b32 exec_lo, exec_lo, s1
	global_wb scope:SCOPE_SE
	s_wait_dscnt 0x0
	s_barrier_signal -1
	s_barrier_wait -1
	global_inv scope:SCOPE_SE
	s_and_saveexec_b32 s33, s0
	s_cbranch_execz .LBB0_26
; %bb.25:
	v_add_nc_u32_e32 v73, 0xfffffcc0, v72
	s_mov_b32 s30, 0x2a9d6da3
	s_mov_b32 s16, 0x4363dd80
	;; [unrolled: 1-line block ×4, first 2 shown]
	v_cndmask_b32_e64 v72, v73, v72, s0
	v_mov_b32_e32 v73, 0
	s_mov_b32 s17, 0xbfe0d888
	s_mov_b32 s19, 0xbfc7851a
	;; [unrolled: 1-line block ×3, first 2 shown]
	s_wait_alu 0xfffe
	s_mov_b32 s40, s30
	v_lshlrev_b64_e32 v[72:73], 4, v[72:73]
	s_mov_b32 s36, 0xeb564b22
	s_mov_b32 s22, 0x923c349f
	s_mov_b32 s26, 0x7c9e640b
	s_mov_b32 s20, 0x6c9a05f6
	s_mov_b32 s14, 0x75d4884
	v_add_co_u32 v98, s0, s4, v72
	s_wait_alu 0xf1ff
	v_add_co_ci_u32_e64 v99, s0, s5, v73, s0
	s_mov_b32 s4, 0x910ea3b9
	s_mov_b32 s28, 0x5d8e7cdc
	s_clause 0x1
	global_load_b128 v[74:77], v[98:99], off offset:736
	global_load_b128 v[82:85], v[98:99], off offset:720
	s_mov_b32 s10, 0x7faef3
	s_mov_b32 s37, 0x3fefdd0d
	;; [unrolled: 1-line block ×12, first 2 shown]
	s_wait_alu 0xfffe
	s_mov_b32 s38, s28
	s_mov_b32 s34, s36
	;; [unrolled: 1-line block ×19, first 2 shown]
	s_wait_loadcnt 0x1
	v_mul_f64_e32 v[72:73], v[66:67], v[76:77]
	s_delay_alu instid0(VALU_DEP_1) | instskip(SKIP_1) | instid1(VALU_DEP_1)
	v_fma_f64 v[72:73], v[64:65], v[74:75], v[72:73]
	v_mul_f64_e32 v[64:65], v[64:65], v[76:77]
	v_fma_f64 v[66:67], v[66:67], v[74:75], -v[64:65]
	s_clause 0x1
	global_load_b128 v[74:77], v[98:99], off offset:752
	global_load_b128 v[90:93], v[98:99], off offset:768
	s_wait_loadcnt 0x1
	v_mul_f64_e32 v[64:65], v[62:63], v[76:77]
	s_delay_alu instid0(VALU_DEP_1) | instskip(SKIP_1) | instid1(VALU_DEP_2)
	v_fma_f64 v[78:79], v[60:61], v[74:75], v[64:65]
	v_mul_f64_e32 v[60:61], v[60:61], v[76:77]
	v_add_f64_e64 v[212:213], v[72:73], -v[78:79]
	s_delay_alu instid0(VALU_DEP_2) | instskip(SKIP_2) | instid1(VALU_DEP_4)
	v_fma_f64 v[80:81], v[62:63], v[74:75], -v[60:61]
	v_mul_f64_e32 v[60:61], v[54:55], v[84:85]
	v_add_f64_e32 v[154:155], v[72:73], v[78:79]
	v_mul_f64_e32 v[214:215], s[36:37], v[212:213]
	s_delay_alu instid0(VALU_DEP_4) | instskip(NEXT) | instid1(VALU_DEP_4)
	v_add_f64_e32 v[152:153], v[66:67], v[80:81]
	v_fma_f64 v[86:87], v[52:53], v[82:83], v[60:61]
	v_mul_f64_e32 v[52:53], v[52:53], v[84:85]
	v_add_f64_e64 v[216:217], v[66:67], -v[80:81]
	s_delay_alu instid0(VALU_DEP_2) | instskip(SKIP_2) | instid1(VALU_DEP_3)
	v_fma_f64 v[88:89], v[54:55], v[82:83], -v[52:53]
	s_wait_loadcnt 0x0
	v_mul_f64_e32 v[52:53], v[58:59], v[92:93]
	v_mul_f64_e32 v[218:219], s[36:37], v[216:217]
	s_delay_alu instid0(VALU_DEP_2) | instskip(SKIP_1) | instid1(VALU_DEP_2)
	v_fma_f64 v[60:61], v[56:57], v[90:91], v[52:53]
	v_mul_f64_e32 v[52:53], v[56:57], v[92:93]
	v_add_f64_e64 v[208:209], v[86:87], -v[60:61]
	s_delay_alu instid0(VALU_DEP_2)
	v_fma_f64 v[82:83], v[58:59], v[90:91], -v[52:53]
	s_clause 0x1
	global_load_b128 v[52:55], v[98:99], off offset:704
	global_load_b128 v[56:59], v[98:99], off offset:688
	v_add_f64_e32 v[150:151], v[86:87], v[60:61]
	v_add_f64_e32 v[148:149], v[88:89], v[82:83]
	v_add_f64_e64 v[210:211], v[88:89], -v[82:83]
	s_wait_loadcnt 0x1
	v_mul_f64_e32 v[62:63], v[30:31], v[54:55]
	s_delay_alu instid0(VALU_DEP_1) | instskip(SKIP_1) | instid1(VALU_DEP_1)
	v_fma_f64 v[100:101], v[28:29], v[52:53], v[62:63]
	v_mul_f64_e32 v[28:29], v[28:29], v[54:55]
	v_fma_f64 v[102:103], v[30:31], v[52:53], -v[28:29]
	s_clause 0x1
	global_load_b128 v[28:31], v[98:99], off offset:784
	global_load_b128 v[52:55], v[98:99], off offset:800
	s_wait_loadcnt 0x1
	v_mul_f64_e32 v[62:63], v[42:43], v[30:31]
	v_mul_f64_e32 v[30:31], v[40:41], v[30:31]
	s_delay_alu instid0(VALU_DEP_2) | instskip(NEXT) | instid1(VALU_DEP_2)
	v_fma_f64 v[92:93], v[40:41], v[28:29], v[62:63]
	v_fma_f64 v[94:95], v[42:43], v[28:29], -v[30:31]
	v_mul_f64_e32 v[28:29], v[26:27], v[58:59]
	s_delay_alu instid0(VALU_DEP_3) | instskip(NEXT) | instid1(VALU_DEP_3)
	v_add_f64_e64 v[204:205], v[100:101], -v[92:93]
	v_add_f64_e32 v[144:145], v[102:103], v[94:95]
	s_delay_alu instid0(VALU_DEP_3) | instskip(SKIP_3) | instid1(VALU_DEP_3)
	v_fma_f64 v[108:109], v[24:25], v[56:57], v[28:29]
	v_mul_f64_e32 v[24:25], v[24:25], v[58:59]
	v_add_f64_e64 v[206:207], v[102:103], -v[94:95]
	v_add_f64_e32 v[146:147], v[100:101], v[92:93]
	v_fma_f64 v[110:111], v[26:27], v[56:57], -v[24:25]
	s_wait_loadcnt 0x0
	v_mul_f64_e32 v[24:25], v[50:51], v[54:55]
	s_delay_alu instid0(VALU_DEP_1) | instskip(SKIP_1) | instid1(VALU_DEP_2)
	v_fma_f64 v[64:65], v[48:49], v[52:53], v[24:25]
	v_mul_f64_e32 v[24:25], v[48:49], v[54:55]
	v_add_f64_e64 v[172:173], v[108:109], -v[64:65]
	s_delay_alu instid0(VALU_DEP_2)
	v_fma_f64 v[96:97], v[50:51], v[52:53], -v[24:25]
	s_clause 0x1
	global_load_b128 v[24:27], v[98:99], off offset:672
	global_load_b128 v[28:31], v[98:99], off offset:656
	v_add_f64_e32 v[142:143], v[108:109], v[64:65]
	v_add_f64_e64 v[174:175], v[110:111], -v[96:97]
	s_wait_loadcnt 0x1
	v_mul_f64_e32 v[40:41], v[22:23], v[26:27]
	s_delay_alu instid0(VALU_DEP_1) | instskip(SKIP_1) | instid1(VALU_DEP_1)
	v_fma_f64 v[112:113], v[20:21], v[24:25], v[40:41]
	v_mul_f64_e32 v[20:21], v[20:21], v[26:27]
	v_fma_f64 v[114:115], v[22:23], v[24:25], -v[20:21]
	s_clause 0x1
	global_load_b128 v[20:23], v[98:99], off offset:816
	global_load_b128 v[24:27], v[98:99], off offset:832
	s_wait_loadcnt 0x1
	v_mul_f64_e32 v[40:41], v[38:39], v[22:23]
	v_mul_f64_e32 v[22:23], v[36:37], v[22:23]
	s_delay_alu instid0(VALU_DEP_2) | instskip(NEXT) | instid1(VALU_DEP_2)
	v_fma_f64 v[74:75], v[36:37], v[20:21], v[40:41]
	v_fma_f64 v[84:85], v[38:39], v[20:21], -v[22:23]
	v_mul_f64_e32 v[20:21], v[14:15], v[30:31]
	s_delay_alu instid0(VALU_DEP_3) | instskip(NEXT) | instid1(VALU_DEP_3)
	v_add_f64_e64 v[168:169], v[112:113], -v[74:75]
	v_add_f64_e64 v[170:171], v[114:115], -v[84:85]
	s_delay_alu instid0(VALU_DEP_3) | instskip(SKIP_1) | instid1(VALU_DEP_1)
	v_fma_f64 v[116:117], v[12:13], v[28:29], v[20:21]
	v_mul_f64_e32 v[12:13], v[12:13], v[30:31]
	v_fma_f64 v[118:119], v[14:15], v[28:29], -v[12:13]
	s_wait_loadcnt 0x0
	v_mul_f64_e32 v[12:13], v[34:35], v[26:27]
	s_delay_alu instid0(VALU_DEP_1) | instskip(SKIP_1) | instid1(VALU_DEP_2)
	v_fma_f64 v[62:63], v[32:33], v[24:25], v[12:13]
	v_mul_f64_e32 v[12:13], v[32:33], v[26:27]
	v_add_f64_e64 v[162:163], v[116:117], -v[62:63]
	s_delay_alu instid0(VALU_DEP_2)
	v_fma_f64 v[76:77], v[34:35], v[24:25], -v[12:13]
	s_clause 0x1
	global_load_b128 v[12:15], v[98:99], off offset:640
	global_load_b128 v[20:23], v[98:99], off offset:624
	v_add_f64_e64 v[164:165], v[118:119], -v[76:77]
	s_wait_loadcnt 0x1
	v_mul_f64_e32 v[24:25], v[10:11], v[14:15]
	s_delay_alu instid0(VALU_DEP_1) | instskip(SKIP_1) | instid1(VALU_DEP_1)
	v_fma_f64 v[120:121], v[8:9], v[12:13], v[24:25]
	v_mul_f64_e32 v[8:9], v[8:9], v[14:15]
	v_fma_f64 v[122:123], v[10:11], v[12:13], -v[8:9]
	s_clause 0x1
	global_load_b128 v[8:11], v[98:99], off offset:848
	global_load_b128 v[12:15], v[98:99], off offset:864
	s_wait_loadcnt 0x1
	v_mul_f64_e32 v[24:25], v[18:19], v[10:11]
	v_mul_f64_e32 v[10:11], v[16:17], v[10:11]
	s_delay_alu instid0(VALU_DEP_2) | instskip(NEXT) | instid1(VALU_DEP_2)
	v_fma_f64 v[98:99], v[16:17], v[8:9], v[24:25]
	v_fma_f64 v[106:107], v[18:19], v[8:9], -v[10:11]
	v_mul_f64_e32 v[8:9], v[6:7], v[22:23]
	s_delay_alu instid0(VALU_DEP_3) | instskip(NEXT) | instid1(VALU_DEP_3)
	v_add_f64_e64 v[158:159], v[120:121], -v[98:99]
	v_add_f64_e64 v[160:161], v[122:123], -v[106:107]
	s_delay_alu instid0(VALU_DEP_3) | instskip(SKIP_1) | instid1(VALU_DEP_2)
	v_fma_f64 v[8:9], v[4:5], v[20:21], v[8:9]
	v_mul_f64_e32 v[4:5], v[4:5], v[22:23]
	v_add_f64_e32 v[156:157], v[0:1], v[8:9]
	s_delay_alu instid0(VALU_DEP_2) | instskip(SKIP_2) | instid1(VALU_DEP_2)
	v_fma_f64 v[4:5], v[6:7], v[20:21], -v[4:5]
	s_wait_loadcnt 0x0
	v_mul_f64_e32 v[6:7], v[46:47], v[14:15]
	v_add_f64_e32 v[186:187], v[2:3], v[4:5]
	s_delay_alu instid0(VALU_DEP_2) | instskip(SKIP_1) | instid1(VALU_DEP_2)
	v_fma_f64 v[90:91], v[44:45], v[12:13], v[6:7]
	v_mul_f64_e32 v[6:7], v[44:45], v[14:15]
	v_add_f64_e32 v[140:141], v[8:9], v[90:91]
	s_delay_alu instid0(VALU_DEP_2) | instskip(SKIP_1) | instid1(VALU_DEP_2)
	v_fma_f64 v[104:105], v[46:47], v[12:13], -v[6:7]
	v_add_f64_e64 v[6:7], v[8:9], -v[90:91]
	v_add_f64_e32 v[44:45], v[4:5], v[104:105]
	s_delay_alu instid0(VALU_DEP_2)
	v_mul_f64_e32 v[10:11], s[18:19], v[6:7]
	v_mul_f64_e32 v[12:13], s[16:17], v[6:7]
	;; [unrolled: 1-line block ×5, first 2 shown]
	s_wait_alu 0xfffe
	v_mul_f64_e32 v[18:19], s[34:35], v[6:7]
	v_mul_f64_e32 v[38:39], s[42:43], v[6:7]
	;; [unrolled: 1-line block ×3, first 2 shown]
	v_fma_f64 v[36:37], v[44:45], s[10:11], v[10:11]
	v_fma_f64 v[34:35], v[44:45], s[10:11], -v[10:11]
	v_fma_f64 v[32:33], v[44:45], s[4:5], v[12:13]
	v_fma_f64 v[30:31], v[44:45], s[4:5], -v[12:13]
	;; [unrolled: 2-line block ×3, first 2 shown]
	v_add_f64_e64 v[40:41], v[4:5], -v[104:105]
	v_fma_f64 v[28:29], v[44:45], s[2:3], v[14:15]
	v_fma_f64 v[26:27], v[44:45], s[2:3], -v[14:15]
	v_fma_f64 v[24:25], v[44:45], s[0:1], v[16:17]
	v_fma_f64 v[22:23], v[44:45], s[0:1], -v[16:17]
	;; [unrolled: 2-line block ×5, first 2 shown]
	v_add_f64_e32 v[4:5], v[2:3], v[36:37]
	v_add_f64_e32 v[34:35], v[2:3], v[34:35]
	;; [unrolled: 1-line block ×6, first 2 shown]
	v_mul_f64_e32 v[44:45], s[16:17], v[40:41]
	v_mul_f64_e32 v[46:47], s[20:21], v[40:41]
	;; [unrolled: 1-line block ×8, first 2 shown]
	v_add_f64_e32 v[28:29], v[2:3], v[28:29]
	v_add_f64_e32 v[26:27], v[2:3], v[26:27]
	;; [unrolled: 1-line block ×8, first 2 shown]
	v_fma_f64 v[128:129], v[140:141], s[4:5], -v[44:45]
	v_fma_f64 v[124:125], v[140:141], s[2:3], -v[46:47]
	;; [unrolled: 1-line block ×3, first 2 shown]
	v_fma_f64 v[130:131], v[140:141], s[10:11], v[42:43]
	v_fma_f64 v[126:127], v[140:141], s[4:5], v[44:45]
	;; [unrolled: 1-line block ×3, first 2 shown]
	v_fma_f64 v[56:57], v[140:141], s[0:1], -v[48:49]
	v_fma_f64 v[54:55], v[140:141], s[0:1], v[48:49]
	v_fma_f64 v[52:53], v[140:141], s[6:7], -v[50:51]
	v_fma_f64 v[50:51], v[140:141], s[6:7], v[50:51]
	;; [unrolled: 2-line block ×5, first 2 shown]
	v_add_f64_e32 v[136:137], v[114:115], v[84:85]
	v_add_f64_e32 v[138:139], v[112:113], v[74:75]
	;; [unrolled: 1-line block ×7, first 2 shown]
	v_mul_f64_e32 v[6:7], s[28:29], v[158:159]
	v_add_f64_e32 v[8:9], v[0:1], v[132:133]
	v_add_f64_e32 v[36:37], v[0:1], v[130:131]
	v_add_f64_e32 v[176:177], v[0:1], v[126:127]
	v_add_f64_e32 v[58:59], v[0:1], v[58:59]
	v_add_f64_e32 v[56:57], v[0:1], v[56:57]
	v_add_f64_e32 v[182:183], v[0:1], v[54:55]
	v_add_f64_e32 v[190:191], v[0:1], v[52:53]
	v_add_f64_e32 v[50:51], v[0:1], v[50:51]
	v_add_f64_e32 v[48:49], v[0:1], v[48:49]
	v_add_f64_e32 v[46:47], v[0:1], v[46:47]
	v_add_f64_e32 v[44:45], v[0:1], v[44:45]
	v_add_f64_e32 v[202:203], v[0:1], v[42:43]
	v_add_f64_e32 v[126:127], v[0:1], v[40:41]
	v_add_f64_e32 v[52:53], v[0:1], v[134:135]
	v_add_f64_e32 v[130:131], v[120:121], v[98:99]
	v_add_f64_e32 v[54:55], v[2:3], v[38:39]
	v_add_f64_e32 v[132:133], v[118:119], v[76:77]
	v_add_f64_e32 v[134:135], v[116:117], v[62:63]
	v_add_f64_e32 v[122:123], v[186:187], v[122:123]
	v_add_f64_e32 v[120:121], v[156:157], v[120:121]
	v_fma_f64 v[0:1], v[128:129], s[24:25], v[6:7]
	v_fma_f64 v[6:7], v[128:129], s[24:25], -v[6:7]
	s_delay_alu instid0(VALU_DEP_4) | instskip(NEXT) | instid1(VALU_DEP_4)
	v_add_f64_e32 v[118:119], v[122:123], v[118:119]
	v_add_f64_e32 v[116:117], v[120:121], v[116:117]
	s_delay_alu instid0(VALU_DEP_4) | instskip(SKIP_4) | instid1(VALU_DEP_4)
	v_add_f64_e32 v[0:1], v[0:1], v[4:5]
	v_mul_f64_e32 v[4:5], s[28:29], v[160:161]
	v_add_f64_e32 v[6:7], v[6:7], v[34:35]
	v_add_f64_e32 v[114:115], v[118:119], v[114:115]
	;; [unrolled: 1-line block ×3, first 2 shown]
	v_fma_f64 v[2:3], v[130:131], s[24:25], -v[4:5]
	v_fma_f64 v[4:5], v[130:131], s[24:25], v[4:5]
	s_delay_alu instid0(VALU_DEP_4) | instskip(NEXT) | instid1(VALU_DEP_4)
	v_add_f64_e32 v[110:111], v[114:115], v[110:111]
	v_add_f64_e32 v[108:109], v[112:113], v[108:109]
	s_delay_alu instid0(VALU_DEP_4) | instskip(SKIP_4) | instid1(VALU_DEP_4)
	v_add_f64_e32 v[2:3], v[2:3], v[8:9]
	v_mul_f64_e32 v[8:9], s[16:17], v[162:163]
	v_add_f64_e32 v[4:5], v[4:5], v[36:37]
	v_add_f64_e32 v[102:103], v[110:111], v[102:103]
	;; [unrolled: 1-line block ×3, first 2 shown]
	v_fma_f64 v[10:11], v[132:133], s[4:5], v[8:9]
	v_fma_f64 v[8:9], v[132:133], s[4:5], -v[8:9]
	s_delay_alu instid0(VALU_DEP_4) | instskip(NEXT) | instid1(VALU_DEP_4)
	v_add_f64_e32 v[88:89], v[102:103], v[88:89]
	v_add_f64_e32 v[86:87], v[100:101], v[86:87]
	s_delay_alu instid0(VALU_DEP_4) | instskip(SKIP_4) | instid1(VALU_DEP_4)
	v_add_f64_e32 v[0:1], v[10:11], v[0:1]
	v_mul_f64_e32 v[10:11], s[16:17], v[164:165]
	v_add_f64_e32 v[6:7], v[8:9], v[6:7]
	v_add_f64_e32 v[66:67], v[88:89], v[66:67]
	;; [unrolled: 1-line block ×3, first 2 shown]
	v_fma_f64 v[12:13], v[134:135], s[4:5], -v[10:11]
	v_fma_f64 v[8:9], v[134:135], s[4:5], v[10:11]
	v_fma_f64 v[10:11], v[154:155], s[6:7], v[218:219]
	v_add_f64_e32 v[66:67], v[66:67], v[80:81]
	v_add_f64_e32 v[72:73], v[72:73], v[78:79]
	;; [unrolled: 1-line block ×3, first 2 shown]
	v_mul_f64_e32 v[12:13], s[30:31], v[168:169]
	v_add_f64_e32 v[4:5], v[8:9], v[4:5]
	v_add_f64_e32 v[66:67], v[66:67], v[82:83]
	;; [unrolled: 1-line block ×3, first 2 shown]
	s_delay_alu instid0(VALU_DEP_4)
	v_fma_f64 v[14:15], v[136:137], s[14:15], v[12:13]
	v_fma_f64 v[8:9], v[136:137], s[14:15], -v[12:13]
	v_mul_f64_e32 v[12:13], s[26:27], v[158:159]
	v_add_f64_e32 v[66:67], v[66:67], v[94:95]
	v_add_f64_e32 v[60:61], v[60:61], v[92:93]
	;; [unrolled: 1-line block ×3, first 2 shown]
	v_mul_f64_e32 v[14:15], s[30:31], v[170:171]
	v_add_f64_e32 v[6:7], v[8:9], v[6:7]
	v_add_f64_e32 v[66:67], v[66:67], v[96:97]
	;; [unrolled: 1-line block ×3, first 2 shown]
	s_delay_alu instid0(VALU_DEP_4)
	v_fma_f64 v[16:17], v[138:139], s[14:15], -v[14:15]
	v_fma_f64 v[8:9], v[138:139], s[14:15], v[14:15]
	v_mul_f64_e32 v[14:15], s[26:27], v[160:161]
	v_add_f64_e32 v[64:65], v[66:67], v[84:85]
	v_add_f64_e32 v[60:61], v[60:61], v[74:75]
	;; [unrolled: 1-line block ×3, first 2 shown]
	v_mul_f64_e32 v[16:17], s[20:21], v[172:173]
	v_add_f64_e32 v[4:5], v[8:9], v[4:5]
	v_add_f64_e32 v[64:65], v[64:65], v[76:77]
	;; [unrolled: 1-line block ×3, first 2 shown]
	s_delay_alu instid0(VALU_DEP_4)
	v_fma_f64 v[18:19], v[140:141], s[2:3], v[16:17]
	v_fma_f64 v[8:9], v[140:141], s[2:3], -v[16:17]
	v_mul_f64_e32 v[16:17], s[34:35], v[162:163]
	v_add_f64_e32 v[62:63], v[64:65], v[106:107]
	v_add_f64_e32 v[60:61], v[60:61], v[98:99]
	;; [unrolled: 1-line block ×3, first 2 shown]
	v_mul_f64_e32 v[18:19], s[20:21], v[174:175]
	v_add_f64_e32 v[6:7], v[8:9], v[6:7]
	v_add_f64_e32 v[62:63], v[62:63], v[104:105]
	;; [unrolled: 1-line block ×3, first 2 shown]
	s_delay_alu instid0(VALU_DEP_4) | instskip(SKIP_3) | instid1(VALU_DEP_4)
	v_fma_f64 v[20:21], v[142:143], s[2:3], -v[18:19]
	v_fma_f64 v[8:9], v[142:143], s[2:3], v[18:19]
	v_fma_f64 v[18:19], v[132:133], s[6:7], v[16:17]
	v_fma_f64 v[16:17], v[132:133], s[6:7], -v[16:17]
	v_add_f64_e32 v[2:3], v[20:21], v[2:3]
	v_mul_f64_e32 v[20:21], s[26:27], v[204:205]
	v_add_f64_e32 v[4:5], v[8:9], v[4:5]
	s_delay_alu instid0(VALU_DEP_2) | instskip(SKIP_1) | instid1(VALU_DEP_2)
	v_fma_f64 v[22:23], v[144:145], s[12:13], v[20:21]
	v_fma_f64 v[8:9], v[144:145], s[12:13], -v[20:21]
	v_add_f64_e32 v[0:1], v[22:23], v[0:1]
	v_mul_f64_e32 v[22:23], s[26:27], v[206:207]
	s_delay_alu instid0(VALU_DEP_3) | instskip(NEXT) | instid1(VALU_DEP_2)
	v_add_f64_e32 v[6:7], v[8:9], v[6:7]
	v_fma_f64 v[38:39], v[146:147], s[12:13], -v[22:23]
	v_fma_f64 v[8:9], v[146:147], s[12:13], v[22:23]
	s_delay_alu instid0(VALU_DEP_2) | instskip(SKIP_1) | instid1(VALU_DEP_3)
	v_add_f64_e32 v[2:3], v[38:39], v[2:3]
	v_mul_f64_e32 v[38:39], s[22:23], v[208:209]
	v_add_f64_e32 v[4:5], v[8:9], v[4:5]
	s_delay_alu instid0(VALU_DEP_2) | instskip(SKIP_1) | instid1(VALU_DEP_2)
	v_fma_f64 v[40:41], v[148:149], s[0:1], v[38:39]
	v_fma_f64 v[8:9], v[148:149], s[0:1], -v[38:39]
	v_add_f64_e32 v[0:1], v[40:41], v[0:1]
	v_mul_f64_e32 v[40:41], s[22:23], v[210:211]
	s_delay_alu instid0(VALU_DEP_3) | instskip(NEXT) | instid1(VALU_DEP_2)
	v_add_f64_e32 v[6:7], v[8:9], v[6:7]
	v_fma_f64 v[8:9], v[150:151], s[0:1], v[40:41]
	v_fma_f64 v[42:43], v[150:151], s[0:1], -v[40:41]
	s_delay_alu instid0(VALU_DEP_2) | instskip(SKIP_1) | instid1(VALU_DEP_3)
	v_add_f64_e32 v[4:5], v[8:9], v[4:5]
	v_fma_f64 v[8:9], v[152:153], s[6:7], -v[214:215]
	v_add_f64_e32 v[42:43], v[42:43], v[2:3]
	v_fma_f64 v[2:3], v[152:153], s[6:7], v[214:215]
	v_mul_f64_e32 v[214:215], s[22:23], v[212:213]
	v_add_f64_e32 v[4:5], v[10:11], v[4:5]
	v_add_f64_e32 v[6:7], v[8:9], v[6:7]
	v_fma_f64 v[8:9], v[128:129], s[12:13], v[12:13]
	v_fma_f64 v[10:11], v[130:131], s[12:13], -v[14:15]
	v_fma_f64 v[12:13], v[128:129], s[12:13], -v[12:13]
	v_fma_f64 v[14:15], v[130:131], s[12:13], v[14:15]
	v_add_f64_e32 v[2:3], v[2:3], v[0:1]
	v_fma_f64 v[0:1], v[154:155], s[6:7], -v[218:219]
	v_mul_f64_e32 v[218:219], s[22:23], v[216:217]
	v_add_f64_e32 v[8:9], v[8:9], v[32:33]
	v_add_f64_e32 v[10:11], v[10:11], v[166:167]
	;; [unrolled: 1-line block ×6, first 2 shown]
	v_mul_f64_e32 v[18:19], s[34:35], v[164:165]
	v_add_f64_e32 v[12:13], v[16:17], v[12:13]
	s_delay_alu instid0(VALU_DEP_2) | instskip(SKIP_2) | instid1(VALU_DEP_3)
	v_fma_f64 v[20:21], v[134:135], s[6:7], -v[18:19]
	v_fma_f64 v[16:17], v[134:135], s[6:7], v[18:19]
	v_fma_f64 v[18:19], v[154:155], s[0:1], v[218:219]
	v_add_f64_e32 v[10:11], v[20:21], v[10:11]
	v_mul_f64_e32 v[20:21], s[46:47], v[168:169]
	s_delay_alu instid0(VALU_DEP_4) | instskip(NEXT) | instid1(VALU_DEP_2)
	v_add_f64_e32 v[14:15], v[16:17], v[14:15]
	v_fma_f64 v[22:23], v[136:137], s[2:3], v[20:21]
	v_fma_f64 v[16:17], v[136:137], s[2:3], -v[20:21]
	v_mul_f64_e32 v[20:21], s[44:45], v[158:159]
	s_delay_alu instid0(VALU_DEP_3) | instskip(SKIP_1) | instid1(VALU_DEP_4)
	v_add_f64_e32 v[8:9], v[22:23], v[8:9]
	v_mul_f64_e32 v[22:23], s[46:47], v[170:171]
	v_add_f64_e32 v[12:13], v[16:17], v[12:13]
	s_delay_alu instid0(VALU_DEP_2) | instskip(SKIP_2) | instid1(VALU_DEP_3)
	v_fma_f64 v[32:33], v[138:139], s[2:3], -v[22:23]
	v_fma_f64 v[16:17], v[138:139], s[2:3], v[22:23]
	v_mul_f64_e32 v[22:23], s[44:45], v[160:161]
	v_add_f64_e32 v[10:11], v[32:33], v[10:11]
	v_mul_f64_e32 v[32:33], s[38:39], v[172:173]
	s_delay_alu instid0(VALU_DEP_4) | instskip(NEXT) | instid1(VALU_DEP_2)
	v_add_f64_e32 v[14:15], v[16:17], v[14:15]
	v_fma_f64 v[34:35], v[140:141], s[24:25], v[32:33]
	v_fma_f64 v[16:17], v[140:141], s[24:25], -v[32:33]
	s_delay_alu instid0(VALU_DEP_2) | instskip(SKIP_1) | instid1(VALU_DEP_3)
	v_add_f64_e32 v[8:9], v[34:35], v[8:9]
	v_mul_f64_e32 v[34:35], s[38:39], v[174:175]
	v_add_f64_e32 v[12:13], v[16:17], v[12:13]
	s_delay_alu instid0(VALU_DEP_2) | instskip(SKIP_1) | instid1(VALU_DEP_2)
	v_fma_f64 v[36:37], v[142:143], s[24:25], -v[34:35]
	v_fma_f64 v[16:17], v[142:143], s[24:25], v[34:35]
	v_add_f64_e32 v[10:11], v[36:37], v[10:11]
	v_mul_f64_e32 v[36:37], s[18:19], v[204:205]
	s_delay_alu instid0(VALU_DEP_3) | instskip(NEXT) | instid1(VALU_DEP_2)
	v_add_f64_e32 v[14:15], v[16:17], v[14:15]
	v_fma_f64 v[38:39], v[144:145], s[10:11], v[36:37]
	v_fma_f64 v[16:17], v[144:145], s[10:11], -v[36:37]
	s_delay_alu instid0(VALU_DEP_2) | instskip(SKIP_1) | instid1(VALU_DEP_3)
	v_add_f64_e32 v[8:9], v[38:39], v[8:9]
	v_mul_f64_e32 v[38:39], s[18:19], v[206:207]
	v_add_f64_e32 v[12:13], v[16:17], v[12:13]
	s_delay_alu instid0(VALU_DEP_2) | instskip(SKIP_1) | instid1(VALU_DEP_2)
	v_fma_f64 v[40:41], v[146:147], s[10:11], -v[38:39]
	v_fma_f64 v[16:17], v[146:147], s[10:11], v[38:39]
	v_add_f64_e32 v[10:11], v[40:41], v[10:11]
	v_mul_f64_e32 v[40:41], s[30:31], v[208:209]
	s_delay_alu instid0(VALU_DEP_3) | instskip(NEXT) | instid1(VALU_DEP_2)
	v_add_f64_e32 v[14:15], v[16:17], v[14:15]
	v_fma_f64 v[42:43], v[148:149], s[14:15], v[40:41]
	v_fma_f64 v[16:17], v[148:149], s[14:15], -v[40:41]
	s_delay_alu instid0(VALU_DEP_2) | instskip(SKIP_1) | instid1(VALU_DEP_3)
	v_add_f64_e32 v[8:9], v[42:43], v[8:9]
	v_mul_f64_e32 v[42:43], s[30:31], v[210:211]
	v_add_f64_e32 v[12:13], v[16:17], v[12:13]
	s_delay_alu instid0(VALU_DEP_2) | instskip(SKIP_1) | instid1(VALU_DEP_2)
	v_fma_f64 v[16:17], v[150:151], s[14:15], v[42:43]
	v_fma_f64 v[166:167], v[150:151], s[14:15], -v[42:43]
	v_add_f64_e32 v[16:17], v[16:17], v[14:15]
	v_fma_f64 v[14:15], v[152:153], s[0:1], -v[214:215]
	s_delay_alu instid0(VALU_DEP_3) | instskip(SKIP_2) | instid1(VALU_DEP_4)
	v_add_f64_e32 v[166:167], v[166:167], v[10:11]
	v_fma_f64 v[10:11], v[152:153], s[0:1], v[214:215]
	v_mul_f64_e32 v[214:215], s[26:27], v[212:213]
	v_add_f64_e32 v[14:15], v[14:15], v[12:13]
	v_add_f64_e32 v[12:13], v[18:19], v[16:17]
	v_fma_f64 v[16:17], v[128:129], s[0:1], v[20:21]
	v_fma_f64 v[18:19], v[130:131], s[0:1], -v[22:23]
	v_fma_f64 v[20:21], v[128:129], s[0:1], -v[20:21]
	v_fma_f64 v[22:23], v[130:131], s[0:1], v[22:23]
	v_add_f64_e32 v[10:11], v[10:11], v[8:9]
	v_fma_f64 v[8:9], v[154:155], s[0:1], -v[218:219]
	v_mul_f64_e32 v[218:219], s[26:27], v[216:217]
	v_add_f64_e32 v[16:17], v[16:17], v[28:29]
	v_mul_f64_e32 v[28:29], s[38:39], v[162:163]
	v_add_f64_e32 v[18:19], v[18:19], v[178:179]
	v_add_f64_e32 v[20:21], v[20:21], v[26:27]
	;; [unrolled: 1-line block ×4, first 2 shown]
	v_fma_f64 v[30:31], v[132:133], s[24:25], v[28:29]
	v_fma_f64 v[26:27], v[132:133], s[24:25], -v[28:29]
	v_fma_f64 v[28:29], v[154:155], s[12:13], v[218:219]
	s_delay_alu instid0(VALU_DEP_3) | instskip(SKIP_1) | instid1(VALU_DEP_4)
	v_add_f64_e32 v[16:17], v[30:31], v[16:17]
	v_mul_f64_e32 v[30:31], s[38:39], v[164:165]
	v_add_f64_e32 v[20:21], v[26:27], v[20:21]
	s_delay_alu instid0(VALU_DEP_2) | instskip(SKIP_2) | instid1(VALU_DEP_3)
	v_fma_f64 v[32:33], v[134:135], s[24:25], -v[30:31]
	v_fma_f64 v[26:27], v[134:135], s[24:25], v[30:31]
	v_mul_f64_e32 v[30:31], s[48:49], v[160:161]
	v_add_f64_e32 v[18:19], v[32:33], v[18:19]
	v_mul_f64_e32 v[32:33], s[16:17], v[168:169]
	s_delay_alu instid0(VALU_DEP_4) | instskip(NEXT) | instid1(VALU_DEP_2)
	v_add_f64_e32 v[22:23], v[26:27], v[22:23]
	v_fma_f64 v[34:35], v[136:137], s[4:5], v[32:33]
	v_fma_f64 v[26:27], v[136:137], s[4:5], -v[32:33]
	v_mul_f64_e32 v[32:33], s[30:31], v[162:163]
	s_delay_alu instid0(VALU_DEP_3) | instskip(SKIP_1) | instid1(VALU_DEP_4)
	v_add_f64_e32 v[16:17], v[34:35], v[16:17]
	v_mul_f64_e32 v[34:35], s[16:17], v[170:171]
	v_add_f64_e32 v[20:21], v[26:27], v[20:21]
	s_delay_alu instid0(VALU_DEP_2) | instskip(SKIP_3) | instid1(VALU_DEP_4)
	v_fma_f64 v[36:37], v[138:139], s[4:5], -v[34:35]
	v_fma_f64 v[26:27], v[138:139], s[4:5], v[34:35]
	v_fma_f64 v[34:35], v[132:133], s[14:15], v[32:33]
	v_fma_f64 v[32:33], v[132:133], s[14:15], -v[32:33]
	v_add_f64_e32 v[18:19], v[36:37], v[18:19]
	v_mul_f64_e32 v[36:37], s[36:37], v[172:173]
	v_add_f64_e32 v[22:23], v[26:27], v[22:23]
	s_delay_alu instid0(VALU_DEP_2) | instskip(SKIP_1) | instid1(VALU_DEP_2)
	v_fma_f64 v[38:39], v[140:141], s[6:7], v[36:37]
	v_fma_f64 v[26:27], v[140:141], s[6:7], -v[36:37]
	v_add_f64_e32 v[16:17], v[38:39], v[16:17]
	v_mul_f64_e32 v[38:39], s[36:37], v[174:175]
	s_delay_alu instid0(VALU_DEP_3) | instskip(NEXT) | instid1(VALU_DEP_2)
	v_add_f64_e32 v[20:21], v[26:27], v[20:21]
	v_fma_f64 v[40:41], v[142:143], s[6:7], -v[38:39]
	v_fma_f64 v[26:27], v[142:143], s[6:7], v[38:39]
	s_delay_alu instid0(VALU_DEP_2) | instskip(SKIP_1) | instid1(VALU_DEP_3)
	v_add_f64_e32 v[18:19], v[40:41], v[18:19]
	v_mul_f64_e32 v[40:41], s[40:41], v[204:205]
	v_add_f64_e32 v[22:23], v[26:27], v[22:23]
	s_delay_alu instid0(VALU_DEP_2) | instskip(SKIP_1) | instid1(VALU_DEP_2)
	v_fma_f64 v[42:43], v[144:145], s[14:15], v[40:41]
	v_fma_f64 v[26:27], v[144:145], s[14:15], -v[40:41]
	v_add_f64_e32 v[16:17], v[42:43], v[16:17]
	v_mul_f64_e32 v[42:43], s[40:41], v[206:207]
	s_delay_alu instid0(VALU_DEP_3) | instskip(NEXT) | instid1(VALU_DEP_2)
	v_add_f64_e32 v[20:21], v[26:27], v[20:21]
	v_fma_f64 v[166:167], v[146:147], s[14:15], -v[42:43]
	v_fma_f64 v[26:27], v[146:147], s[14:15], v[42:43]
	s_delay_alu instid0(VALU_DEP_2) | instskip(SKIP_1) | instid1(VALU_DEP_3)
	v_add_f64_e32 v[18:19], v[166:167], v[18:19]
	v_mul_f64_e32 v[166:167], s[18:19], v[208:209]
	v_add_f64_e32 v[22:23], v[26:27], v[22:23]
	s_delay_alu instid0(VALU_DEP_2) | instskip(SKIP_1) | instid1(VALU_DEP_2)
	v_fma_f64 v[176:177], v[148:149], s[10:11], v[166:167]
	v_fma_f64 v[26:27], v[148:149], s[10:11], -v[166:167]
	v_add_f64_e32 v[16:17], v[176:177], v[16:17]
	v_mul_f64_e32 v[176:177], s[18:19], v[210:211]
	s_delay_alu instid0(VALU_DEP_3) | instskip(NEXT) | instid1(VALU_DEP_2)
	v_add_f64_e32 v[20:21], v[26:27], v[20:21]
	v_fma_f64 v[26:27], v[150:151], s[10:11], v[176:177]
	v_fma_f64 v[178:179], v[150:151], s[10:11], -v[176:177]
	s_delay_alu instid0(VALU_DEP_2) | instskip(SKIP_1) | instid1(VALU_DEP_3)
	v_add_f64_e32 v[26:27], v[26:27], v[22:23]
	v_fma_f64 v[22:23], v[152:153], s[12:13], -v[214:215]
	v_add_f64_e32 v[178:179], v[178:179], v[18:19]
	v_fma_f64 v[18:19], v[152:153], s[12:13], v[214:215]
	v_mul_f64_e32 v[214:215], s[20:21], v[212:213]
	s_delay_alu instid0(VALU_DEP_4)
	v_add_f64_e32 v[22:23], v[22:23], v[20:21]
	v_add_f64_e32 v[20:21], v[28:29], v[26:27]
	v_mul_f64_e32 v[28:29], s[48:49], v[158:159]
	v_add_f64_e32 v[18:19], v[18:19], v[16:17]
	v_fma_f64 v[16:17], v[154:155], s[12:13], -v[218:219]
	v_mul_f64_e32 v[218:219], s[20:21], v[216:217]
	s_delay_alu instid0(VALU_DEP_4) | instskip(SKIP_1) | instid1(VALU_DEP_4)
	v_fma_f64 v[26:27], v[128:129], s[4:5], v[28:29]
	v_fma_f64 v[28:29], v[128:129], s[4:5], -v[28:29]
	v_add_f64_e32 v[16:17], v[16:17], v[178:179]
	s_delay_alu instid0(VALU_DEP_3) | instskip(SKIP_1) | instid1(VALU_DEP_4)
	v_add_f64_e32 v[24:25], v[26:27], v[24:25]
	v_fma_f64 v[26:27], v[130:131], s[4:5], -v[30:31]
	v_add_f64_e32 v[28:29], v[28:29], v[180:181]
	v_fma_f64 v[30:31], v[130:131], s[4:5], v[30:31]
	s_delay_alu instid0(VALU_DEP_4) | instskip(SKIP_2) | instid1(VALU_DEP_4)
	v_add_f64_e32 v[24:25], v[34:35], v[24:25]
	v_mul_f64_e32 v[34:35], s[30:31], v[164:165]
	v_add_f64_e32 v[26:27], v[26:27], v[56:57]
	v_add_f64_e32 v[30:31], v[30:31], v[182:183]
	;; [unrolled: 1-line block ×3, first 2 shown]
	s_delay_alu instid0(VALU_DEP_4) | instskip(SKIP_1) | instid1(VALU_DEP_2)
	v_fma_f64 v[36:37], v[134:135], s[14:15], -v[34:35]
	v_fma_f64 v[32:33], v[134:135], s[14:15], v[34:35]
	v_add_f64_e32 v[26:27], v[36:37], v[26:27]
	v_mul_f64_e32 v[36:37], s[42:43], v[168:169]
	s_delay_alu instid0(VALU_DEP_3) | instskip(NEXT) | instid1(VALU_DEP_2)
	v_add_f64_e32 v[30:31], v[32:33], v[30:31]
	v_fma_f64 v[38:39], v[136:137], s[12:13], v[36:37]
	v_fma_f64 v[32:33], v[136:137], s[12:13], -v[36:37]
	v_fma_f64 v[36:37], v[154:155], s[2:3], v[218:219]
	s_delay_alu instid0(VALU_DEP_3) | instskip(SKIP_1) | instid1(VALU_DEP_4)
	v_add_f64_e32 v[24:25], v[38:39], v[24:25]
	v_mul_f64_e32 v[38:39], s[42:43], v[170:171]
	v_add_f64_e32 v[28:29], v[32:33], v[28:29]
	s_delay_alu instid0(VALU_DEP_2) | instskip(SKIP_2) | instid1(VALU_DEP_3)
	v_fma_f64 v[40:41], v[138:139], s[12:13], -v[38:39]
	v_fma_f64 v[32:33], v[138:139], s[12:13], v[38:39]
	v_mul_f64_e32 v[38:39], s[18:19], v[160:161]
	v_add_f64_e32 v[26:27], v[40:41], v[26:27]
	v_mul_f64_e32 v[40:41], s[18:19], v[172:173]
	s_delay_alu instid0(VALU_DEP_4) | instskip(NEXT) | instid1(VALU_DEP_2)
	v_add_f64_e32 v[30:31], v[32:33], v[30:31]
	v_fma_f64 v[42:43], v[140:141], s[10:11], v[40:41]
	v_fma_f64 v[32:33], v[140:141], s[10:11], -v[40:41]
	v_mul_f64_e32 v[40:41], s[44:45], v[162:163]
	s_delay_alu instid0(VALU_DEP_3) | instskip(SKIP_1) | instid1(VALU_DEP_4)
	v_add_f64_e32 v[24:25], v[42:43], v[24:25]
	v_mul_f64_e32 v[42:43], s[18:19], v[174:175]
	v_add_f64_e32 v[28:29], v[32:33], v[28:29]
	s_delay_alu instid0(VALU_DEP_2) | instskip(SKIP_3) | instid1(VALU_DEP_4)
	v_fma_f64 v[56:57], v[142:143], s[10:11], -v[42:43]
	v_fma_f64 v[32:33], v[142:143], s[10:11], v[42:43]
	v_fma_f64 v[42:43], v[132:133], s[0:1], v[40:41]
	v_fma_f64 v[40:41], v[132:133], s[0:1], -v[40:41]
	v_add_f64_e32 v[26:27], v[56:57], v[26:27]
	v_mul_f64_e32 v[56:57], s[36:37], v[204:205]
	v_add_f64_e32 v[30:31], v[32:33], v[30:31]
	s_delay_alu instid0(VALU_DEP_2) | instskip(SKIP_1) | instid1(VALU_DEP_2)
	v_fma_f64 v[58:59], v[144:145], s[6:7], v[56:57]
	v_fma_f64 v[32:33], v[144:145], s[6:7], -v[56:57]
	v_add_f64_e32 v[24:25], v[58:59], v[24:25]
	v_mul_f64_e32 v[58:59], s[36:37], v[206:207]
	s_delay_alu instid0(VALU_DEP_3) | instskip(SKIP_2) | instid1(VALU_DEP_2)
	v_add_f64_e32 v[28:29], v[32:33], v[28:29]
	s_mov_b32 s37, 0x3fc7851a
	s_mov_b32 s36, s18
	v_fma_f64 v[166:167], v[146:147], s[6:7], -v[58:59]
	v_fma_f64 v[32:33], v[146:147], s[6:7], v[58:59]
	s_delay_alu instid0(VALU_DEP_2) | instskip(SKIP_1) | instid1(VALU_DEP_3)
	v_add_f64_e32 v[26:27], v[166:167], v[26:27]
	v_mul_f64_e32 v[166:167], s[38:39], v[208:209]
	v_add_f64_e32 v[30:31], v[32:33], v[30:31]
	s_delay_alu instid0(VALU_DEP_2) | instskip(SKIP_1) | instid1(VALU_DEP_2)
	v_fma_f64 v[176:177], v[148:149], s[24:25], v[166:167]
	v_fma_f64 v[32:33], v[148:149], s[24:25], -v[166:167]
	v_add_f64_e32 v[24:25], v[176:177], v[24:25]
	v_mul_f64_e32 v[176:177], s[38:39], v[210:211]
	s_delay_alu instid0(VALU_DEP_3) | instskip(NEXT) | instid1(VALU_DEP_2)
	v_add_f64_e32 v[28:29], v[32:33], v[28:29]
	v_fma_f64 v[32:33], v[150:151], s[24:25], v[176:177]
	v_fma_f64 v[178:179], v[150:151], s[24:25], -v[176:177]
	s_delay_alu instid0(VALU_DEP_2) | instskip(SKIP_1) | instid1(VALU_DEP_3)
	v_add_f64_e32 v[30:31], v[32:33], v[30:31]
	v_fma_f64 v[32:33], v[152:153], s[2:3], -v[214:215]
	v_add_f64_e32 v[178:179], v[178:179], v[26:27]
	v_fma_f64 v[26:27], v[152:153], s[2:3], v[214:215]
	v_mul_f64_e32 v[214:215], s[30:31], v[212:213]
	s_delay_alu instid0(VALU_DEP_4)
	v_add_f64_e32 v[34:35], v[32:33], v[28:29]
	v_add_f64_e32 v[32:33], v[36:37], v[30:31]
	v_mul_f64_e32 v[36:37], s[18:19], v[158:159]
	v_fma_f64 v[30:31], v[130:131], s[10:11], -v[38:39]
	v_add_f64_e32 v[26:27], v[26:27], v[24:25]
	v_fma_f64 v[24:25], v[154:155], s[2:3], -v[218:219]
	v_fma_f64 v[38:39], v[130:131], s[10:11], v[38:39]
	v_mul_f64_e32 v[218:219], s[30:31], v[216:217]
	v_fma_f64 v[28:29], v[128:129], s[10:11], v[36:37]
	v_add_f64_e32 v[30:31], v[30:31], v[190:191]
	v_fma_f64 v[36:37], v[128:129], s[10:11], -v[36:37]
	v_add_f64_e32 v[24:25], v[24:25], v[178:179]
	v_add_f64_e32 v[38:39], v[38:39], v[50:51]
	v_fma_f64 v[50:51], v[154:155], s[14:15], v[218:219]
	v_add_f64_e32 v[28:29], v[28:29], v[184:185]
	v_add_f64_e32 v[36:37], v[36:37], v[192:193]
	s_delay_alu instid0(VALU_DEP_2) | instskip(SKIP_1) | instid1(VALU_DEP_3)
	v_add_f64_e32 v[28:29], v[42:43], v[28:29]
	v_mul_f64_e32 v[42:43], s[44:45], v[164:165]
	v_add_f64_e32 v[36:37], v[40:41], v[36:37]
	s_delay_alu instid0(VALU_DEP_2) | instskip(SKIP_1) | instid1(VALU_DEP_2)
	v_fma_f64 v[56:57], v[134:135], s[0:1], -v[42:43]
	v_fma_f64 v[40:41], v[134:135], s[0:1], v[42:43]
	v_add_f64_e32 v[30:31], v[56:57], v[30:31]
	v_mul_f64_e32 v[56:57], s[28:29], v[168:169]
	s_delay_alu instid0(VALU_DEP_3) | instskip(NEXT) | instid1(VALU_DEP_2)
	v_add_f64_e32 v[38:39], v[40:41], v[38:39]
	v_fma_f64 v[58:59], v[136:137], s[24:25], v[56:57]
	v_fma_f64 v[40:41], v[136:137], s[24:25], -v[56:57]
	v_mul_f64_e32 v[56:57], s[20:21], v[160:161]
	s_delay_alu instid0(VALU_DEP_3) | instskip(SKIP_1) | instid1(VALU_DEP_4)
	v_add_f64_e32 v[28:29], v[58:59], v[28:29]
	v_mul_f64_e32 v[58:59], s[28:29], v[170:171]
	v_add_f64_e32 v[36:37], v[40:41], v[36:37]
	s_delay_alu instid0(VALU_DEP_2) | instskip(SKIP_1) | instid1(VALU_DEP_2)
	v_fma_f64 v[166:167], v[138:139], s[24:25], -v[58:59]
	v_fma_f64 v[40:41], v[138:139], s[24:25], v[58:59]
	v_add_f64_e32 v[30:31], v[166:167], v[30:31]
	v_mul_f64_e32 v[166:167], s[42:43], v[172:173]
	s_delay_alu instid0(VALU_DEP_3) | instskip(NEXT) | instid1(VALU_DEP_2)
	v_add_f64_e32 v[38:39], v[40:41], v[38:39]
	v_fma_f64 v[176:177], v[140:141], s[12:13], v[166:167]
	v_fma_f64 v[40:41], v[140:141], s[12:13], -v[166:167]
	s_delay_alu instid0(VALU_DEP_2) | instskip(SKIP_1) | instid1(VALU_DEP_3)
	v_add_f64_e32 v[28:29], v[176:177], v[28:29]
	v_mul_f64_e32 v[176:177], s[42:43], v[174:175]
	v_add_f64_e32 v[36:37], v[40:41], v[36:37]
	s_delay_alu instid0(VALU_DEP_2) | instskip(SKIP_1) | instid1(VALU_DEP_2)
	v_fma_f64 v[178:179], v[142:143], s[12:13], -v[176:177]
	v_fma_f64 v[40:41], v[142:143], s[12:13], v[176:177]
	v_add_f64_e32 v[30:31], v[178:179], v[30:31]
	v_mul_f64_e32 v[178:179], s[16:17], v[204:205]
	s_delay_alu instid0(VALU_DEP_3) | instskip(NEXT) | instid1(VALU_DEP_2)
	v_add_f64_e32 v[38:39], v[40:41], v[38:39]
	v_fma_f64 v[180:181], v[144:145], s[4:5], v[178:179]
	v_fma_f64 v[40:41], v[144:145], s[4:5], -v[178:179]
	s_delay_alu instid0(VALU_DEP_2) | instskip(SKIP_1) | instid1(VALU_DEP_3)
	;; [unrolled: 13-line block ×3, first 2 shown]
	v_add_f64_e32 v[28:29], v[184:185], v[28:29]
	v_mul_f64_e32 v[184:185], s[46:47], v[210:211]
	v_add_f64_e32 v[36:37], v[40:41], v[36:37]
	s_delay_alu instid0(VALU_DEP_2) | instskip(SKIP_1) | instid1(VALU_DEP_2)
	v_fma_f64 v[40:41], v[150:151], s[2:3], v[184:185]
	v_fma_f64 v[190:191], v[150:151], s[2:3], -v[184:185]
	v_add_f64_e32 v[38:39], v[40:41], v[38:39]
	v_fma_f64 v[40:41], v[152:153], s[14:15], -v[214:215]
	s_delay_alu instid0(VALU_DEP_3) | instskip(SKIP_2) | instid1(VALU_DEP_4)
	v_add_f64_e32 v[190:191], v[190:191], v[30:31]
	v_fma_f64 v[30:31], v[152:153], s[14:15], v[214:215]
	v_mul_f64_e32 v[214:215], s[16:17], v[212:213]
	v_add_f64_e32 v[42:43], v[40:41], v[36:37]
	v_add_f64_e32 v[40:41], v[50:51], v[38:39]
	v_mul_f64_e32 v[50:51], s[20:21], v[158:159]
	v_fma_f64 v[38:39], v[130:131], s[2:3], -v[56:57]
	v_fma_f64 v[56:57], v[130:131], s[2:3], v[56:57]
	v_add_f64_e32 v[30:31], v[30:31], v[28:29]
	v_fma_f64 v[28:29], v[154:155], s[14:15], -v[218:219]
	v_mul_f64_e32 v[218:219], s[16:17], v[216:217]
	v_fma_f64 v[36:37], v[128:129], s[2:3], v[50:51]
	v_add_f64_e32 v[38:39], v[38:39], v[48:49]
	s_wait_alu 0xfffe
	v_mul_f64_e32 v[48:49], s[36:37], v[162:163]
	v_fma_f64 v[50:51], v[128:129], s[2:3], -v[50:51]
	v_add_f64_e32 v[46:47], v[56:57], v[46:47]
	v_add_f64_e32 v[28:29], v[28:29], v[190:191]
	v_fma_f64 v[56:57], v[154:155], s[4:5], v[218:219]
	v_add_f64_e32 v[36:37], v[36:37], v[194:195]
	v_fma_f64 v[58:59], v[132:133], s[10:11], v[48:49]
	v_add_f64_e32 v[50:51], v[50:51], v[196:197]
	v_fma_f64 v[48:49], v[132:133], s[10:11], -v[48:49]
	s_delay_alu instid0(VALU_DEP_3) | instskip(SKIP_1) | instid1(VALU_DEP_3)
	v_add_f64_e32 v[36:37], v[58:59], v[36:37]
	v_mul_f64_e32 v[58:59], s[36:37], v[164:165]
	v_add_f64_e32 v[48:49], v[48:49], v[50:51]
	s_delay_alu instid0(VALU_DEP_2) | instskip(SKIP_3) | instid1(VALU_DEP_4)
	v_fma_f64 v[166:167], v[134:135], s[10:11], -v[58:59]
	v_fma_f64 v[50:51], v[134:135], s[10:11], v[58:59]
	v_mul_f64_e32 v[58:59], s[34:35], v[160:161]
	v_mul_f64_e32 v[160:161], s[40:41], v[160:161]
	v_add_f64_e32 v[38:39], v[166:167], v[38:39]
	v_mul_f64_e32 v[166:167], s[44:45], v[168:169]
	v_add_f64_e32 v[46:47], v[50:51], v[46:47]
	s_delay_alu instid0(VALU_DEP_4) | instskip(NEXT) | instid1(VALU_DEP_3)
	v_fma_f64 v[66:67], v[130:131], s[14:15], -v[160:161]
	v_fma_f64 v[176:177], v[136:137], s[0:1], v[166:167]
	v_fma_f64 v[50:51], v[136:137], s[0:1], -v[166:167]
	v_fma_f64 v[166:167], v[130:131], s[6:7], -v[58:59]
	v_fma_f64 v[58:59], v[130:131], s[6:7], v[58:59]
	v_add_f64_e32 v[66:67], v[66:67], v[126:127]
	v_add_f64_e32 v[36:37], v[176:177], v[36:37]
	v_mul_f64_e32 v[176:177], s[44:45], v[170:171]
	v_add_f64_e32 v[48:49], v[50:51], v[48:49]
	v_add_f64_e32 v[44:45], v[166:167], v[44:45]
	v_mul_f64_e32 v[166:167], s[20:21], v[162:163]
	v_add_f64_e32 v[58:59], v[58:59], v[202:203]
	v_mul_f64_e32 v[162:163], s[42:43], v[162:163]
	v_fma_f64 v[178:179], v[138:139], s[0:1], -v[176:177]
	v_fma_f64 v[50:51], v[138:139], s[0:1], v[176:177]
	v_fma_f64 v[176:177], v[132:133], s[2:3], v[166:167]
	v_fma_f64 v[166:167], v[132:133], s[2:3], -v[166:167]
	v_fma_f64 v[72:73], v[132:133], s[12:13], v[162:163]
	v_add_f64_e32 v[38:39], v[178:179], v[38:39]
	v_mul_f64_e32 v[178:179], s[30:31], v[172:173]
	v_add_f64_e32 v[46:47], v[50:51], v[46:47]
	s_delay_alu instid0(VALU_DEP_2) | instskip(SKIP_1) | instid1(VALU_DEP_2)
	v_fma_f64 v[180:181], v[140:141], s[14:15], v[178:179]
	v_fma_f64 v[50:51], v[140:141], s[14:15], -v[178:179]
	v_add_f64_e32 v[36:37], v[180:181], v[36:37]
	v_mul_f64_e32 v[180:181], s[30:31], v[174:175]
	s_delay_alu instid0(VALU_DEP_3) | instskip(NEXT) | instid1(VALU_DEP_2)
	v_add_f64_e32 v[48:49], v[50:51], v[48:49]
	v_fma_f64 v[182:183], v[142:143], s[14:15], -v[180:181]
	v_fma_f64 v[50:51], v[142:143], s[14:15], v[180:181]
	s_delay_alu instid0(VALU_DEP_2) | instskip(SKIP_1) | instid1(VALU_DEP_3)
	v_add_f64_e32 v[38:39], v[182:183], v[38:39]
	v_mul_f64_e32 v[182:183], s[38:39], v[204:205]
	v_add_f64_e32 v[46:47], v[50:51], v[46:47]
	s_delay_alu instid0(VALU_DEP_2) | instskip(SKIP_1) | instid1(VALU_DEP_2)
	v_fma_f64 v[184:185], v[144:145], s[24:25], v[182:183]
	v_fma_f64 v[50:51], v[144:145], s[24:25], -v[182:183]
	v_add_f64_e32 v[36:37], v[184:185], v[36:37]
	v_mul_f64_e32 v[184:185], s[38:39], v[206:207]
	s_delay_alu instid0(VALU_DEP_3) | instskip(NEXT) | instid1(VALU_DEP_2)
	v_add_f64_e32 v[48:49], v[50:51], v[48:49]
	v_fma_f64 v[190:191], v[146:147], s[24:25], -v[184:185]
	v_fma_f64 v[50:51], v[146:147], s[24:25], v[184:185]
	s_delay_alu instid0(VALU_DEP_2) | instskip(SKIP_1) | instid1(VALU_DEP_3)
	v_add_f64_e32 v[38:39], v[190:191], v[38:39]
	v_mul_f64_e32 v[190:191], s[34:35], v[208:209]
	v_add_f64_e32 v[46:47], v[50:51], v[46:47]
	s_delay_alu instid0(VALU_DEP_2) | instskip(SKIP_1) | instid1(VALU_DEP_2)
	v_fma_f64 v[192:193], v[148:149], s[6:7], v[190:191]
	v_fma_f64 v[50:51], v[148:149], s[6:7], -v[190:191]
	v_add_f64_e32 v[36:37], v[192:193], v[36:37]
	v_mul_f64_e32 v[192:193], s[34:35], v[210:211]
	s_delay_alu instid0(VALU_DEP_3) | instskip(NEXT) | instid1(VALU_DEP_2)
	v_add_f64_e32 v[48:49], v[50:51], v[48:49]
	v_fma_f64 v[50:51], v[150:151], s[6:7], v[192:193]
	v_fma_f64 v[194:195], v[150:151], s[6:7], -v[192:193]
	s_delay_alu instid0(VALU_DEP_2) | instskip(SKIP_1) | instid1(VALU_DEP_3)
	v_add_f64_e32 v[46:47], v[50:51], v[46:47]
	v_fma_f64 v[50:51], v[152:153], s[4:5], -v[214:215]
	v_add_f64_e32 v[194:195], v[194:195], v[38:39]
	v_fma_f64 v[38:39], v[152:153], s[4:5], v[214:215]
	s_delay_alu instid0(VALU_DEP_3) | instskip(SKIP_2) | instid1(VALU_DEP_4)
	v_add_f64_e32 v[50:51], v[50:51], v[48:49]
	v_add_f64_e32 v[48:49], v[56:57], v[46:47]
	v_mul_f64_e32 v[56:57], s[34:35], v[158:159]
	v_add_f64_e32 v[38:39], v[38:39], v[36:37]
	v_fma_f64 v[36:37], v[154:155], s[4:5], -v[218:219]
	v_mul_f64_e32 v[158:159], s[40:41], v[158:159]
	s_delay_alu instid0(VALU_DEP_4) | instskip(SKIP_1) | instid1(VALU_DEP_4)
	v_fma_f64 v[46:47], v[128:129], s[6:7], v[56:57]
	v_fma_f64 v[56:57], v[128:129], s[6:7], -v[56:57]
	v_add_f64_e32 v[36:37], v[36:37], v[194:195]
	s_delay_alu instid0(VALU_DEP_4) | instskip(NEXT) | instid1(VALU_DEP_4)
	v_fma_f64 v[64:65], v[128:129], s[14:15], v[158:159]
	v_add_f64_e32 v[46:47], v[46:47], v[198:199]
	s_delay_alu instid0(VALU_DEP_4) | instskip(NEXT) | instid1(VALU_DEP_3)
	v_add_f64_e32 v[56:57], v[56:57], v[200:201]
	v_add_f64_e32 v[64:65], v[64:65], v[124:125]
	s_delay_alu instid0(VALU_DEP_3) | instskip(SKIP_1) | instid1(VALU_DEP_4)
	v_add_f64_e32 v[46:47], v[176:177], v[46:47]
	v_mul_f64_e32 v[176:177], s[20:21], v[164:165]
	v_add_f64_e32 v[56:57], v[166:167], v[56:57]
	s_delay_alu instid0(VALU_DEP_4) | instskip(NEXT) | instid1(VALU_DEP_3)
	v_add_f64_e32 v[64:65], v[72:73], v[64:65]
	v_fma_f64 v[178:179], v[134:135], s[2:3], -v[176:177]
	v_fma_f64 v[166:167], v[134:135], s[2:3], v[176:177]
	s_delay_alu instid0(VALU_DEP_2) | instskip(SKIP_1) | instid1(VALU_DEP_3)
	v_add_f64_e32 v[44:45], v[178:179], v[44:45]
	v_mul_f64_e32 v[178:179], s[18:19], v[168:169]
	v_add_f64_e32 v[58:59], v[166:167], v[58:59]
	s_delay_alu instid0(VALU_DEP_2) | instskip(SKIP_2) | instid1(VALU_DEP_3)
	v_fma_f64 v[180:181], v[136:137], s[10:11], v[178:179]
	v_fma_f64 v[166:167], v[136:137], s[10:11], -v[178:179]
	v_mul_f64_e32 v[178:179], s[20:21], v[206:207]
	v_add_f64_e32 v[46:47], v[180:181], v[46:47]
	v_mul_f64_e32 v[180:181], s[18:19], v[170:171]
	s_delay_alu instid0(VALU_DEP_4) | instskip(SKIP_1) | instid1(VALU_DEP_3)
	v_add_f64_e32 v[56:57], v[166:167], v[56:57]
	v_mul_f64_e32 v[170:171], s[34:35], v[170:171]
	v_fma_f64 v[182:183], v[138:139], s[10:11], -v[180:181]
	v_fma_f64 v[166:167], v[138:139], s[10:11], v[180:181]
	s_delay_alu instid0(VALU_DEP_3) | instskip(NEXT) | instid1(VALU_DEP_3)
	v_fma_f64 v[78:79], v[138:139], s[6:7], -v[170:171]
	v_add_f64_e32 v[44:45], v[182:183], v[44:45]
	v_mul_f64_e32 v[182:183], s[48:49], v[172:173]
	s_delay_alu instid0(VALU_DEP_4) | instskip(NEXT) | instid1(VALU_DEP_2)
	v_add_f64_e32 v[58:59], v[166:167], v[58:59]
	v_fma_f64 v[184:185], v[140:141], s[4:5], v[182:183]
	v_fma_f64 v[166:167], v[140:141], s[4:5], -v[182:183]
	v_mul_f64_e32 v[182:183], s[18:19], v[216:217]
	s_delay_alu instid0(VALU_DEP_3) | instskip(SKIP_1) | instid1(VALU_DEP_4)
	v_add_f64_e32 v[46:47], v[184:185], v[46:47]
	v_mul_f64_e32 v[184:185], s[48:49], v[174:175]
	v_add_f64_e32 v[56:57], v[166:167], v[56:57]
	v_mul_f64_e32 v[174:175], s[22:23], v[174:175]
	s_delay_alu instid0(VALU_DEP_3) | instskip(SKIP_2) | instid1(VALU_DEP_3)
	v_fma_f64 v[190:191], v[142:143], s[4:5], -v[184:185]
	v_fma_f64 v[166:167], v[142:143], s[4:5], v[184:185]
	v_mul_f64_e32 v[184:185], s[16:17], v[210:211]
	v_add_f64_e32 v[44:45], v[190:191], v[44:45]
	v_mul_f64_e32 v[190:191], s[44:45], v[204:205]
	s_delay_alu instid0(VALU_DEP_4) | instskip(NEXT) | instid1(VALU_DEP_2)
	v_add_f64_e32 v[58:59], v[166:167], v[58:59]
	v_fma_f64 v[192:193], v[144:145], s[0:1], v[190:191]
	v_fma_f64 v[166:167], v[144:145], s[0:1], -v[190:191]
	s_delay_alu instid0(VALU_DEP_2) | instskip(SKIP_1) | instid1(VALU_DEP_3)
	v_add_f64_e32 v[46:47], v[192:193], v[46:47]
	v_mul_f64_e32 v[192:193], s[44:45], v[206:207]
	v_add_f64_e32 v[56:57], v[166:167], v[56:57]
	s_delay_alu instid0(VALU_DEP_2) | instskip(SKIP_1) | instid1(VALU_DEP_2)
	v_fma_f64 v[194:195], v[146:147], s[0:1], -v[192:193]
	v_fma_f64 v[166:167], v[146:147], s[0:1], v[192:193]
	v_add_f64_e32 v[44:45], v[194:195], v[44:45]
	v_mul_f64_e32 v[194:195], s[26:27], v[208:209]
	s_delay_alu instid0(VALU_DEP_3) | instskip(NEXT) | instid1(VALU_DEP_2)
	v_add_f64_e32 v[58:59], v[166:167], v[58:59]
	v_fma_f64 v[196:197], v[148:149], s[12:13], v[194:195]
	v_fma_f64 v[166:167], v[148:149], s[12:13], -v[194:195]
	s_delay_alu instid0(VALU_DEP_2) | instskip(SKIP_1) | instid1(VALU_DEP_3)
	v_add_f64_e32 v[46:47], v[196:197], v[46:47]
	v_mul_f64_e32 v[196:197], s[26:27], v[210:211]
	v_add_f64_e32 v[56:57], v[166:167], v[56:57]
	s_delay_alu instid0(VALU_DEP_2) | instskip(SKIP_1) | instid1(VALU_DEP_2)
	v_fma_f64 v[198:199], v[150:151], s[12:13], -v[196:197]
	v_fma_f64 v[166:167], v[150:151], s[12:13], v[196:197]
	v_add_f64_e32 v[44:45], v[198:199], v[44:45]
	v_mul_f64_e32 v[198:199], s[28:29], v[212:213]
	s_delay_alu instid0(VALU_DEP_3) | instskip(NEXT) | instid1(VALU_DEP_2)
	v_add_f64_e32 v[166:167], v[166:167], v[58:59]
	v_fma_f64 v[214:215], v[152:153], s[24:25], v[198:199]
	v_fma_f64 v[58:59], v[152:153], s[24:25], -v[198:199]
	s_delay_alu instid0(VALU_DEP_2) | instskip(SKIP_1) | instid1(VALU_DEP_3)
	v_add_f64_e32 v[46:47], v[214:215], v[46:47]
	v_mul_f64_e32 v[214:215], s[28:29], v[216:217]
	v_add_f64_e32 v[58:59], v[58:59], v[56:57]
	s_delay_alu instid0(VALU_DEP_2) | instskip(SKIP_1) | instid1(VALU_DEP_2)
	v_fma_f64 v[176:177], v[154:155], s[24:25], v[214:215]
	v_fma_f64 v[218:219], v[154:155], s[24:25], -v[214:215]
	v_add_f64_e32 v[56:57], v[176:177], v[166:167]
	v_fma_f64 v[166:167], v[128:129], s[14:15], -v[158:159]
	s_delay_alu instid0(VALU_DEP_3) | instskip(NEXT) | instid1(VALU_DEP_2)
	v_add_f64_e32 v[44:45], v[218:219], v[44:45]
	v_add_f64_e32 v[54:55], v[166:167], v[54:55]
	v_fma_f64 v[166:167], v[130:131], s[14:15], v[160:161]
	s_delay_alu instid0(VALU_DEP_1) | instskip(SKIP_1) | instid1(VALU_DEP_1)
	v_add_f64_e32 v[52:53], v[166:167], v[52:53]
	v_fma_f64 v[166:167], v[132:133], s[12:13], -v[162:163]
	v_add_f64_e32 v[54:55], v[166:167], v[54:55]
	v_mul_f64_e32 v[166:167], s[42:43], v[164:165]
	s_delay_alu instid0(VALU_DEP_1) | instskip(SKIP_1) | instid1(VALU_DEP_2)
	v_fma_f64 v[164:165], v[134:135], s[12:13], v[166:167]
	v_fma_f64 v[74:75], v[134:135], s[12:13], -v[166:167]
	v_add_f64_e32 v[52:53], v[164:165], v[52:53]
	v_mul_f64_e32 v[164:165], s[34:35], v[168:169]
	s_delay_alu instid0(VALU_DEP_3) | instskip(SKIP_1) | instid1(VALU_DEP_3)
	v_add_f64_e32 v[66:67], v[74:75], v[66:67]
	v_fma_f64 v[74:75], v[142:143], s[0:1], -v[174:175]
	v_fma_f64 v[168:169], v[136:137], s[6:7], -v[164:165]
	v_fma_f64 v[76:77], v[136:137], s[6:7], v[164:165]
	s_delay_alu instid0(VALU_DEP_4) | instskip(SKIP_1) | instid1(VALU_DEP_4)
	v_add_f64_e32 v[66:67], v[78:79], v[66:67]
	v_fma_f64 v[78:79], v[146:147], s[2:3], -v[178:179]
	v_add_f64_e32 v[54:55], v[168:169], v[54:55]
	v_fma_f64 v[168:169], v[138:139], s[6:7], v[170:171]
	v_add_f64_e32 v[64:65], v[76:77], v[64:65]
	v_add_f64_e32 v[66:67], v[74:75], v[66:67]
	v_fma_f64 v[74:75], v[150:151], s[4:5], -v[184:185]
	s_delay_alu instid0(VALU_DEP_4) | instskip(SKIP_1) | instid1(VALU_DEP_4)
	v_add_f64_e32 v[52:53], v[168:169], v[52:53]
	v_mul_f64_e32 v[168:169], s[22:23], v[172:173]
	v_add_f64_e32 v[66:67], v[78:79], v[66:67]
	v_fma_f64 v[78:79], v[154:155], s[10:11], -v[182:183]
	s_delay_alu instid0(VALU_DEP_3) | instskip(SKIP_1) | instid1(VALU_DEP_2)
	v_fma_f64 v[172:173], v[140:141], s[0:1], -v[168:169]
	v_fma_f64 v[72:73], v[140:141], s[0:1], v[168:169]
	v_add_f64_e32 v[54:55], v[172:173], v[54:55]
	v_fma_f64 v[172:173], v[142:143], s[0:1], v[174:175]
	s_delay_alu instid0(VALU_DEP_3) | instskip(NEXT) | instid1(VALU_DEP_2)
	v_add_f64_e32 v[64:65], v[72:73], v[64:65]
	v_add_f64_e32 v[52:53], v[172:173], v[52:53]
	v_mul_f64_e32 v[172:173], s[20:21], v[204:205]
	s_delay_alu instid0(VALU_DEP_1) | instskip(SKIP_1) | instid1(VALU_DEP_2)
	v_fma_f64 v[176:177], v[144:145], s[2:3], -v[172:173]
	v_fma_f64 v[76:77], v[144:145], s[2:3], v[172:173]
	v_add_f64_e32 v[54:55], v[176:177], v[54:55]
	v_fma_f64 v[176:177], v[146:147], s[2:3], v[178:179]
	s_delay_alu instid0(VALU_DEP_3) | instskip(NEXT) | instid1(VALU_DEP_2)
	v_add_f64_e32 v[64:65], v[76:77], v[64:65]
	v_add_f64_e32 v[52:53], v[176:177], v[52:53]
	v_mul_f64_e32 v[176:177], s[16:17], v[208:209]
	s_delay_alu instid0(VALU_DEP_1) | instskip(SKIP_1) | instid1(VALU_DEP_2)
	v_fma_f64 v[180:181], v[148:149], s[4:5], -v[176:177]
	v_fma_f64 v[72:73], v[148:149], s[4:5], v[176:177]
	v_add_f64_e32 v[54:55], v[180:181], v[54:55]
	v_fma_f64 v[180:181], v[150:151], s[4:5], v[184:185]
	s_delay_alu instid0(VALU_DEP_3) | instskip(SKIP_1) | instid1(VALU_DEP_3)
	v_add_f64_e32 v[64:65], v[72:73], v[64:65]
	v_add_f64_e32 v[72:73], v[74:75], v[66:67]
	v_add_f64_e32 v[52:53], v[180:181], v[52:53]
	v_mul_f64_e32 v[180:181], s[18:19], v[212:213]
	s_delay_alu instid0(VALU_DEP_1) | instskip(SKIP_1) | instid1(VALU_DEP_2)
	v_fma_f64 v[190:191], v[152:153], s[10:11], -v[180:181]
	v_fma_f64 v[76:77], v[152:153], s[10:11], v[180:181]
	v_add_f64_e32 v[54:55], v[190:191], v[54:55]
	v_fma_f64 v[190:191], v[154:155], s[10:11], v[182:183]
	s_delay_alu instid0(VALU_DEP_3) | instskip(SKIP_1) | instid1(VALU_DEP_3)
	v_add_f64_e32 v[66:67], v[76:77], v[64:65]
	v_add_f64_e32 v[64:65], v[78:79], v[72:73]
	v_add_f64_e32 v[52:53], v[190:191], v[52:53]
	ds_store_b128 v69, v[56:59] offset:1664
	ds_store_b128 v69, v[48:51] offset:2496
	;; [unrolled: 1-line block ×15, first 2 shown]
	ds_store_b128 v189, v[60:63]
	ds_store_b128 v69, v[64:67] offset:13312
.LBB0_26:
	s_or_b32 exec_lo, exec_lo, s33
	global_wb scope:SCOPE_SE
	s_wait_dscnt 0x0
	s_barrier_signal -1
	s_barrier_wait -1
	global_inv scope:SCOPE_SE
	s_and_saveexec_b32 s0, vcc_lo
	s_cbranch_execz .LBB0_28
; %bb.27:
	v_dual_mov_b32 v69, 0 :: v_dual_add_nc_u32 v8, 0x44, v68
	v_add_co_u32 v30, vcc_lo, s8, v70
	v_lshl_add_u32 v28, v68, 4, v188
	s_delay_alu instid0(VALU_DEP_3) | instskip(SKIP_4) | instid1(VALU_DEP_4)
	v_lshlrev_b64_e32 v[0:1], 4, v[68:69]
	s_wait_alu 0xfffd
	v_add_co_ci_u32_e32 v31, vcc_lo, s9, v71, vcc_lo
	v_dual_mov_b32 v9, v69 :: v_dual_add_nc_u32 v10, 0x88, v68
	v_dual_mov_b32 v11, v69 :: v_dual_add_nc_u32 v22, 0xcc, v68
	v_add_co_u32 v16, vcc_lo, v30, v0
	s_wait_alu 0xfffd
	v_add_co_ci_u32_e32 v17, vcc_lo, v31, v1, vcc_lo
	ds_load_b128 v[0:3], v28
	ds_load_b128 v[4:7], v28 offset:1088
	v_lshlrev_b64_e32 v[18:19], 4, v[8:9]
	v_lshlrev_b64_e32 v[20:21], 4, v[10:11]
	ds_load_b128 v[8:11], v28 offset:2176
	ds_load_b128 v[12:15], v28 offset:3264
	v_dual_mov_b32 v23, v69 :: v_dual_add_nc_u32 v24, 0x110, v68
	v_mov_b32_e32 v25, v69
	v_add_co_u32 v18, vcc_lo, v30, v18
	s_delay_alu instid0(VALU_DEP_3)
	v_lshlrev_b64_e32 v[22:23], 4, v[22:23]
	s_wait_alu 0xfffd
	v_add_co_ci_u32_e32 v19, vcc_lo, v31, v19, vcc_lo
	v_add_co_u32 v20, vcc_lo, v30, v20
	s_wait_alu 0xfffd
	v_add_co_ci_u32_e32 v21, vcc_lo, v31, v21, vcc_lo
	v_add_co_u32 v22, vcc_lo, v30, v22
	s_wait_alu 0xfffd
	v_add_co_ci_u32_e32 v23, vcc_lo, v31, v23, vcc_lo
	s_wait_dscnt 0x3
	global_store_b128 v[16:17], v[0:3], off
	s_wait_dscnt 0x2
	global_store_b128 v[18:19], v[4:7], off
	;; [unrolled: 2-line block ×4, first 2 shown]
	v_add_nc_u32_e32 v8, 0x154, v68
	v_lshlrev_b64_e32 v[0:1], 4, v[24:25]
	v_dual_mov_b32 v9, v69 :: v_dual_add_nc_u32 v10, 0x198, v68
	v_dual_mov_b32 v11, v69 :: v_dual_add_nc_u32 v22, 0x1dc, v68
	;; [unrolled: 1-line block ×3, first 2 shown]
	s_delay_alu instid0(VALU_DEP_4)
	v_add_co_u32 v16, vcc_lo, v30, v0
	s_wait_alu 0xfffd
	v_add_co_ci_u32_e32 v17, vcc_lo, v31, v1, vcc_lo
	ds_load_b128 v[0:3], v28 offset:4352
	ds_load_b128 v[4:7], v28 offset:5440
	v_lshlrev_b64_e32 v[18:19], 4, v[8:9]
	v_lshlrev_b64_e32 v[20:21], 4, v[10:11]
	ds_load_b128 v[8:11], v28 offset:6528
	ds_load_b128 v[12:15], v28 offset:7616
	v_lshlrev_b64_e32 v[22:23], 4, v[22:23]
	v_add_co_u32 v18, vcc_lo, v30, v18
	s_wait_alu 0xfffd
	v_add_co_ci_u32_e32 v19, vcc_lo, v31, v19, vcc_lo
	v_add_co_u32 v20, vcc_lo, v30, v20
	s_wait_alu 0xfffd
	v_add_co_ci_u32_e32 v21, vcc_lo, v31, v21, vcc_lo
	v_add_co_u32 v22, vcc_lo, v30, v22
	s_wait_dscnt 0x3
	global_store_b128 v[16:17], v[0:3], off
	s_wait_dscnt 0x2
	global_store_b128 v[18:19], v[4:7], off
	v_dual_mov_b32 v3, v69 :: v_dual_add_nc_u32 v2, 0x264, v68
	s_wait_alu 0xfffd
	v_add_co_ci_u32_e32 v23, vcc_lo, v31, v23, vcc_lo
	v_lshlrev_b64_e32 v[0:1], 4, v[24:25]
	s_wait_dscnt 0x1
	global_store_b128 v[20:21], v[8:11], off
	s_wait_dscnt 0x0
	global_store_b128 v[22:23], v[12:15], off
	v_lshlrev_b64_e32 v[8:9], 4, v[2:3]
	v_dual_mov_b32 v11, v69 :: v_dual_add_nc_u32 v10, 0x2a8, v68
	v_add_co_u32 v20, vcc_lo, v30, v0
	s_wait_alu 0xfffd
	v_add_co_ci_u32_e32 v21, vcc_lo, v31, v1, vcc_lo
	s_delay_alu instid0(VALU_DEP_4)
	v_add_co_u32 v22, vcc_lo, v30, v8
	ds_load_b128 v[0:3], v28 offset:8704
	ds_load_b128 v[4:7], v28 offset:9792
	s_wait_alu 0xfffd
	v_add_co_ci_u32_e32 v23, vcc_lo, v31, v9, vcc_lo
	v_lshlrev_b64_e32 v[26:27], 4, v[10:11]
	ds_load_b128 v[8:11], v28 offset:10880
	ds_load_b128 v[12:15], v28 offset:11968
	;; [unrolled: 1-line block ×3, first 2 shown]
	v_add_nc_u32_e32 v24, 0x2ec, v68
	v_add_nc_u32_e32 v68, 0x330, v68
	v_add_co_u32 v26, vcc_lo, v30, v26
	s_delay_alu instid0(VALU_DEP_3) | instskip(NEXT) | instid1(VALU_DEP_3)
	v_lshlrev_b64_e32 v[24:25], 4, v[24:25]
	v_lshlrev_b64_e32 v[28:29], 4, v[68:69]
	s_wait_alu 0xfffd
	v_add_co_ci_u32_e32 v27, vcc_lo, v31, v27, vcc_lo
	s_delay_alu instid0(VALU_DEP_3)
	v_add_co_u32 v24, vcc_lo, v30, v24
	s_wait_alu 0xfffd
	v_add_co_ci_u32_e32 v25, vcc_lo, v31, v25, vcc_lo
	v_add_co_u32 v28, vcc_lo, v30, v28
	s_wait_alu 0xfffd
	v_add_co_ci_u32_e32 v29, vcc_lo, v31, v29, vcc_lo
	s_wait_dscnt 0x4
	global_store_b128 v[20:21], v[0:3], off
	s_wait_dscnt 0x3
	global_store_b128 v[22:23], v[4:7], off
	;; [unrolled: 2-line block ×5, first 2 shown]
.LBB0_28:
	s_nop 0
	s_sendmsg sendmsg(MSG_DEALLOC_VGPRS)
	s_endpgm
	.section	.rodata,"a",@progbits
	.p2align	6, 0x0
	.amdhsa_kernel fft_rtc_back_len884_factors_13_4_17_wgs_204_tpt_68_halfLds_dp_ip_CI_unitstride_sbrr_C2R_dirReg
		.amdhsa_group_segment_fixed_size 0
		.amdhsa_private_segment_fixed_size 0
		.amdhsa_kernarg_size 88
		.amdhsa_user_sgpr_count 2
		.amdhsa_user_sgpr_dispatch_ptr 0
		.amdhsa_user_sgpr_queue_ptr 0
		.amdhsa_user_sgpr_kernarg_segment_ptr 1
		.amdhsa_user_sgpr_dispatch_id 0
		.amdhsa_user_sgpr_private_segment_size 0
		.amdhsa_wavefront_size32 1
		.amdhsa_uses_dynamic_stack 0
		.amdhsa_enable_private_segment 0
		.amdhsa_system_sgpr_workgroup_id_x 1
		.amdhsa_system_sgpr_workgroup_id_y 0
		.amdhsa_system_sgpr_workgroup_id_z 0
		.amdhsa_system_sgpr_workgroup_info 0
		.amdhsa_system_vgpr_workitem_id 0
		.amdhsa_next_free_vgpr 238
		.amdhsa_next_free_sgpr 50
		.amdhsa_reserve_vcc 1
		.amdhsa_float_round_mode_32 0
		.amdhsa_float_round_mode_16_64 0
		.amdhsa_float_denorm_mode_32 3
		.amdhsa_float_denorm_mode_16_64 3
		.amdhsa_fp16_overflow 0
		.amdhsa_workgroup_processor_mode 1
		.amdhsa_memory_ordered 1
		.amdhsa_forward_progress 0
		.amdhsa_round_robin_scheduling 0
		.amdhsa_exception_fp_ieee_invalid_op 0
		.amdhsa_exception_fp_denorm_src 0
		.amdhsa_exception_fp_ieee_div_zero 0
		.amdhsa_exception_fp_ieee_overflow 0
		.amdhsa_exception_fp_ieee_underflow 0
		.amdhsa_exception_fp_ieee_inexact 0
		.amdhsa_exception_int_div_zero 0
	.end_amdhsa_kernel
	.text
.Lfunc_end0:
	.size	fft_rtc_back_len884_factors_13_4_17_wgs_204_tpt_68_halfLds_dp_ip_CI_unitstride_sbrr_C2R_dirReg, .Lfunc_end0-fft_rtc_back_len884_factors_13_4_17_wgs_204_tpt_68_halfLds_dp_ip_CI_unitstride_sbrr_C2R_dirReg
                                        ; -- End function
	.section	.AMDGPU.csdata,"",@progbits
; Kernel info:
; codeLenInByte = 14564
; NumSgprs: 52
; NumVgprs: 238
; ScratchSize: 0
; MemoryBound: 0
; FloatMode: 240
; IeeeMode: 1
; LDSByteSize: 0 bytes/workgroup (compile time only)
; SGPRBlocks: 6
; VGPRBlocks: 29
; NumSGPRsForWavesPerEU: 52
; NumVGPRsForWavesPerEU: 238
; Occupancy: 6
; WaveLimiterHint : 1
; COMPUTE_PGM_RSRC2:SCRATCH_EN: 0
; COMPUTE_PGM_RSRC2:USER_SGPR: 2
; COMPUTE_PGM_RSRC2:TRAP_HANDLER: 0
; COMPUTE_PGM_RSRC2:TGID_X_EN: 1
; COMPUTE_PGM_RSRC2:TGID_Y_EN: 0
; COMPUTE_PGM_RSRC2:TGID_Z_EN: 0
; COMPUTE_PGM_RSRC2:TIDIG_COMP_CNT: 0
	.text
	.p2alignl 7, 3214868480
	.fill 96, 4, 3214868480
	.type	__hip_cuid_ff11409d2121fe1e,@object ; @__hip_cuid_ff11409d2121fe1e
	.section	.bss,"aw",@nobits
	.globl	__hip_cuid_ff11409d2121fe1e
__hip_cuid_ff11409d2121fe1e:
	.byte	0                               ; 0x0
	.size	__hip_cuid_ff11409d2121fe1e, 1

	.ident	"AMD clang version 19.0.0git (https://github.com/RadeonOpenCompute/llvm-project roc-6.4.0 25133 c7fe45cf4b819c5991fe208aaa96edf142730f1d)"
	.section	".note.GNU-stack","",@progbits
	.addrsig
	.addrsig_sym __hip_cuid_ff11409d2121fe1e
	.amdgpu_metadata
---
amdhsa.kernels:
  - .args:
      - .actual_access:  read_only
        .address_space:  global
        .offset:         0
        .size:           8
        .value_kind:     global_buffer
      - .offset:         8
        .size:           8
        .value_kind:     by_value
      - .actual_access:  read_only
        .address_space:  global
        .offset:         16
        .size:           8
        .value_kind:     global_buffer
      - .actual_access:  read_only
        .address_space:  global
        .offset:         24
        .size:           8
        .value_kind:     global_buffer
      - .offset:         32
        .size:           8
        .value_kind:     by_value
      - .actual_access:  read_only
        .address_space:  global
        .offset:         40
        .size:           8
        .value_kind:     global_buffer
      - .actual_access:  read_only
        .address_space:  global
        .offset:         48
        .size:           8
        .value_kind:     global_buffer
      - .offset:         56
        .size:           4
        .value_kind:     by_value
      - .actual_access:  read_only
        .address_space:  global
        .offset:         64
        .size:           8
        .value_kind:     global_buffer
      - .actual_access:  read_only
        .address_space:  global
        .offset:         72
        .size:           8
        .value_kind:     global_buffer
      - .address_space:  global
        .offset:         80
        .size:           8
        .value_kind:     global_buffer
    .group_segment_fixed_size: 0
    .kernarg_segment_align: 8
    .kernarg_segment_size: 88
    .language:       OpenCL C
    .language_version:
      - 2
      - 0
    .max_flat_workgroup_size: 204
    .name:           fft_rtc_back_len884_factors_13_4_17_wgs_204_tpt_68_halfLds_dp_ip_CI_unitstride_sbrr_C2R_dirReg
    .private_segment_fixed_size: 0
    .sgpr_count:     52
    .sgpr_spill_count: 0
    .symbol:         fft_rtc_back_len884_factors_13_4_17_wgs_204_tpt_68_halfLds_dp_ip_CI_unitstride_sbrr_C2R_dirReg.kd
    .uniform_work_group_size: 1
    .uses_dynamic_stack: false
    .vgpr_count:     238
    .vgpr_spill_count: 0
    .wavefront_size: 32
    .workgroup_processor_mode: 1
amdhsa.target:   amdgcn-amd-amdhsa--gfx1201
amdhsa.version:
  - 1
  - 2
...

	.end_amdgpu_metadata
